;; amdgpu-corpus repo=ROCm/rocFFT kind=compiled arch=gfx1201 opt=O3
	.text
	.amdgcn_target "amdgcn-amd-amdhsa--gfx1201"
	.amdhsa_code_object_version 6
	.protected	bluestein_single_fwd_len1872_dim1_dp_op_CI_CI ; -- Begin function bluestein_single_fwd_len1872_dim1_dp_op_CI_CI
	.globl	bluestein_single_fwd_len1872_dim1_dp_op_CI_CI
	.p2align	8
	.type	bluestein_single_fwd_len1872_dim1_dp_op_CI_CI,@function
bluestein_single_fwd_len1872_dim1_dp_op_CI_CI: ; @bluestein_single_fwd_len1872_dim1_dp_op_CI_CI
; %bb.0:
	s_load_b128 s[8:11], s[0:1], 0x28
	v_mul_u32_u24_e32 v1, 0x1a5, v0
	s_mov_b32 s2, exec_lo
	v_mov_b32_e32 v170, 0
	s_delay_alu instid0(VALU_DEP_2) | instskip(NEXT) | instid1(VALU_DEP_1)
	v_lshrrev_b32_e32 v1, 16, v1
	v_add_nc_u32_e32 v169, ttmp9, v1
	s_wait_kmcnt 0x0
	s_delay_alu instid0(VALU_DEP_1)
	v_cmpx_gt_u64_e64 s[8:9], v[169:170]
	s_cbranch_execz .LBB0_15
; %bb.1:
	s_clause 0x1
	s_load_b64 s[8:9], s[0:1], 0x0
	s_load_b64 s[12:13], s[0:1], 0x38
	v_mul_lo_u16 v1, 0x9c, v1
	s_delay_alu instid0(VALU_DEP_1) | instskip(NEXT) | instid1(VALU_DEP_1)
	v_sub_nc_u16 v0, v0, v1
	v_and_b32_e32 v170, 0xffff, v0
	v_cmp_gt_u16_e32 vcc_lo, 0x90, v0
	s_delay_alu instid0(VALU_DEP_2)
	v_lshlrev_b32_e32 v255, 4, v170
	s_and_saveexec_b32 s3, vcc_lo
	s_cbranch_execz .LBB0_3
; %bb.2:
	s_load_b64 s[4:5], s[0:1], 0x18
	s_wait_kmcnt 0x0
	s_load_b128 s[4:7], s[4:5], 0x0
	s_wait_kmcnt 0x0
	v_mad_co_u64_u32 v[16:17], null, s4, v170, 0
	v_mad_co_u64_u32 v[0:1], null, s6, v169, 0
	s_delay_alu instid0(VALU_DEP_2) | instskip(NEXT) | instid1(VALU_DEP_1)
	v_mov_b32_e32 v2, v17
	v_mad_co_u64_u32 v[3:4], null, s7, v169, v[1:2]
	s_delay_alu instid0(VALU_DEP_1) | instskip(SKIP_2) | instid1(VALU_DEP_2)
	v_mov_b32_e32 v1, v3
	v_mad_co_u64_u32 v[4:5], null, s5, v170, v[2:3]
	s_mul_u64 s[4:5], s[4:5], 0x900
	v_lshlrev_b64_e32 v[18:19], 4, v[0:1]
	s_delay_alu instid0(VALU_DEP_2)
	v_mov_b32_e32 v17, v4
	s_clause 0x3
	global_load_b128 v[0:3], v255, s[8:9]
	global_load_b128 v[4:7], v255, s[8:9] offset:2304
	global_load_b128 v[8:11], v255, s[8:9] offset:4608
	;; [unrolled: 1-line block ×3, first 2 shown]
	v_add_co_u32 v26, s2, s10, v18
	s_delay_alu instid0(VALU_DEP_1)
	v_add_co_ci_u32_e64 v27, s2, s11, v19, s2
	v_lshlrev_b64_e32 v[24:25], 4, v[16:17]
	s_clause 0x1
	global_load_b128 v[16:19], v255, s[8:9] offset:9216
	global_load_b128 v[20:23], v255, s[8:9] offset:11520
	v_add_co_u32 v40, s2, v26, v24
	s_wait_alu 0xf1ff
	v_add_co_ci_u32_e64 v41, s2, v27, v25, s2
	s_clause 0x1
	global_load_b128 v[24:27], v255, s[8:9] offset:13824
	global_load_b128 v[28:31], v255, s[8:9] offset:16128
	s_wait_alu 0xfffe
	v_add_co_u32 v44, s2, v40, s4
	s_wait_alu 0xf1ff
	v_add_co_ci_u32_e64 v45, s2, s5, v41, s2
	s_clause 0x1
	global_load_b128 v[32:35], v255, s[8:9] offset:18432
	global_load_b128 v[36:39], v255, s[8:9] offset:20736
	v_add_co_u32 v48, s2, v44, s4
	s_wait_alu 0xf1ff
	v_add_co_ci_u32_e64 v49, s2, s5, v45, s2
	s_clause 0x1
	global_load_b128 v[40:43], v[40:41], off
	global_load_b128 v[44:47], v[44:45], off
	v_add_co_u32 v52, s2, v48, s4
	s_wait_alu 0xf1ff
	v_add_co_ci_u32_e64 v53, s2, s5, v49, s2
	s_delay_alu instid0(VALU_DEP_2) | instskip(SKIP_1) | instid1(VALU_DEP_2)
	v_add_co_u32 v56, s2, v52, s4
	s_wait_alu 0xf1ff
	v_add_co_ci_u32_e64 v57, s2, s5, v53, s2
	s_clause 0x1
	global_load_b128 v[48:51], v[48:49], off
	global_load_b128 v[52:55], v[52:53], off
	v_add_co_u32 v60, s2, v56, s4
	s_wait_alu 0xf1ff
	v_add_co_ci_u32_e64 v61, s2, s5, v57, s2
	global_load_b128 v[56:59], v[56:57], off
	v_add_co_u32 v64, s2, v60, s4
	s_wait_alu 0xf1ff
	v_add_co_ci_u32_e64 v65, s2, s5, v61, s2
	global_load_b128 v[60:63], v[60:61], off
	v_add_co_u32 v68, s2, v64, s4
	s_wait_alu 0xf1ff
	v_add_co_ci_u32_e64 v69, s2, s5, v65, s2
	global_load_b128 v[64:67], v[64:65], off
	v_add_co_u32 v72, s2, v68, s4
	s_wait_alu 0xf1ff
	v_add_co_ci_u32_e64 v73, s2, s5, v69, s2
	global_load_b128 v[68:71], v[68:69], off
	v_add_co_u32 v76, s2, v72, s4
	s_wait_alu 0xf1ff
	v_add_co_ci_u32_e64 v77, s2, s5, v73, s2
	global_load_b128 v[72:75], v[72:73], off
	v_add_co_u32 v80, s2, v76, s4
	s_wait_alu 0xf1ff
	v_add_co_ci_u32_e64 v81, s2, s5, v77, s2
	global_load_b128 v[76:79], v[76:77], off
	v_add_co_u32 v92, s2, v80, s4
	s_wait_alu 0xf1ff
	v_add_co_ci_u32_e64 v93, s2, s5, v81, s2
	global_load_b128 v[80:83], v[80:81], off
	v_add_co_u32 v100, s2, v92, s4
	s_wait_alu 0xf1ff
	v_add_co_ci_u32_e64 v101, s2, s5, v93, s2
	s_clause 0x1
	global_load_b128 v[84:87], v255, s[8:9] offset:23040
	global_load_b128 v[88:91], v255, s[8:9] offset:25344
	global_load_b128 v[92:95], v[92:93], off
	global_load_b128 v[96:99], v255, s[8:9] offset:27648
	global_load_b128 v[100:103], v[100:101], off
	s_wait_loadcnt 0xf
	v_mul_f64_e32 v[104:105], v[42:43], v[2:3]
	v_mul_f64_e32 v[2:3], v[40:41], v[2:3]
	s_wait_loadcnt 0xe
	v_mul_f64_e32 v[106:107], v[46:47], v[6:7]
	v_mul_f64_e32 v[6:7], v[44:45], v[6:7]
	;; [unrolled: 3-line block ×10, first 2 shown]
	v_fma_f64 v[38:39], v[40:41], v[0:1], v[104:105]
	v_fma_f64 v[40:41], v[42:43], v[0:1], -v[2:3]
	v_fma_f64 v[0:1], v[44:45], v[4:5], v[106:107]
	v_fma_f64 v[2:3], v[46:47], v[4:5], -v[6:7]
	s_wait_loadcnt 0x4
	v_mul_f64_e32 v[126:127], v[82:83], v[86:87]
	v_mul_f64_e32 v[86:87], v[80:81], v[86:87]
	s_wait_loadcnt 0x2
	v_mul_f64_e32 v[128:129], v[94:95], v[90:91]
	v_mul_f64_e32 v[90:91], v[92:93], v[90:91]
	;; [unrolled: 3-line block ×3, first 2 shown]
	v_fma_f64 v[4:5], v[48:49], v[8:9], v[108:109]
	v_fma_f64 v[6:7], v[50:51], v[8:9], -v[10:11]
	v_fma_f64 v[8:9], v[52:53], v[12:13], v[110:111]
	v_fma_f64 v[10:11], v[54:55], v[12:13], -v[14:15]
	;; [unrolled: 2-line block ×11, first 2 shown]
	ds_store_b128 v255, v[38:41]
	ds_store_b128 v255, v[0:3] offset:2304
	ds_store_b128 v255, v[4:7] offset:4608
	;; [unrolled: 1-line block ×12, first 2 shown]
.LBB0_3:
	s_or_b32 exec_lo, exec_lo, s3
	s_clause 0x1
	s_load_b64 s[2:3], s[0:1], 0x20
	s_load_b64 s[0:1], s[0:1], 0x8
	global_wb scope:SCOPE_SE
	s_wait_dscnt 0x0
	s_wait_kmcnt 0x0
	s_barrier_signal -1
	s_barrier_wait -1
	global_inv scope:SCOPE_SE
                                        ; implicit-def: $vgpr20_vgpr21
                                        ; implicit-def: $vgpr44_vgpr45
                                        ; implicit-def: $vgpr40_vgpr41
                                        ; implicit-def: $vgpr28_vgpr29
                                        ; implicit-def: $vgpr24_vgpr25
                                        ; implicit-def: $vgpr8_vgpr9
                                        ; implicit-def: $vgpr4_vgpr5
                                        ; implicit-def: $vgpr12_vgpr13
                                        ; implicit-def: $vgpr16_vgpr17
                                        ; implicit-def: $vgpr32_vgpr33
                                        ; implicit-def: $vgpr36_vgpr37
                                        ; implicit-def: $vgpr52_vgpr53
                                        ; implicit-def: $vgpr48_vgpr49
	s_and_saveexec_b32 s4, vcc_lo
	s_cbranch_execz .LBB0_5
; %bb.4:
	ds_load_b128 v[20:23], v255
	ds_load_b128 v[48:51], v255 offset:2304
	ds_load_b128 v[52:55], v255 offset:4608
	;; [unrolled: 1-line block ×12, first 2 shown]
.LBB0_5:
	s_wait_alu 0xfffe
	s_or_b32 exec_lo, exec_lo, s4
	s_wait_dscnt 0x0
	v_add_f64_e64 v[108:109], v[50:51], -v[6:7]
	v_add_f64_e64 v[90:91], v[48:49], -v[4:5]
	s_mov_b32 s4, 0x4267c47c
	s_mov_b32 s5, 0xbfddbe06
	v_add_f64_e32 v[86:87], v[4:5], v[48:49]
	v_add_f64_e32 v[110:111], v[6:7], v[50:51]
	v_add_f64_e64 v[112:113], v[54:55], -v[10:11]
	v_add_f64_e64 v[94:95], v[52:53], -v[8:9]
	s_mov_b32 s6, 0xe00740e9
	s_mov_b32 s14, 0x42a4c3d2
	s_mov_b32 s7, 0x3fec55a7
	s_mov_b32 s15, 0xbfea55e2
	v_add_f64_e32 v[72:73], v[8:9], v[52:53]
	v_add_f64_e32 v[116:117], v[10:11], v[54:55]
	v_add_f64_e64 v[118:119], v[46:47], -v[14:15]
	v_add_f64_e64 v[106:107], v[44:45], -v[12:13]
	s_mov_b32 s10, 0x1ea71119
	s_mov_b32 s18, 0x66966769
	;; [unrolled: 8-line block ×4, first 2 shown]
	s_mov_b32 s29, 0xbfd6b1d8
	s_mov_b32 s21, 0xbfe5384d
	v_add_f64_e32 v[62:63], v[24:25], v[36:37]
	v_add_f64_e32 v[124:125], v[26:27], v[38:39]
	s_wait_alu 0xfffe
	v_mul_f64_e32 v[96:97], s[4:5], v[108:109]
	v_mul_f64_e32 v[98:99], s[4:5], v[90:91]
	v_add_f64_e64 v[114:115], v[34:35], -v[30:31]
	s_mov_b32 s22, 0xd0032e0c
	s_mov_b32 s30, 0x4bc48dbf
	;; [unrolled: 1-line block ×3, first 2 shown]
	v_mul_f64_e32 v[82:83], s[14:15], v[112:113]
	v_mul_f64_e32 v[92:93], s[14:15], v[94:95]
	s_mov_b32 s31, 0xbfcea1e5
	v_add_f64_e32 v[126:127], v[30:31], v[34:35]
	s_mov_b32 s24, 0x93053d00
	s_mov_b32 s25, 0xbfef11f4
	v_mul_f64_e32 v[100:101], s[18:19], v[118:119]
	v_mul_f64_e32 v[104:105], s[18:19], v[106:107]
	;; [unrolled: 1-line block ×6, first 2 shown]
	v_fma_f64 v[0:1], v[86:87], s[6:7], v[96:97]
	v_fma_f64 v[2:3], v[110:111], s[6:7], -v[98:99]
	v_fma_f64 v[56:57], v[72:73], s[10:11], v[82:83]
	v_fma_f64 v[58:59], v[116:117], s[10:11], -v[92:93]
	;; [unrolled: 2-line block ×3, first 2 shown]
	v_fma_f64 v[130:131], v[122:123], s[28:29], -v[80:81]
	v_fma_f64 v[128:129], v[64:65], s[28:29], v[78:79]
	v_fma_f64 v[134:135], v[124:125], s[22:23], -v[76:77]
	v_fma_f64 v[132:133], v[62:63], s[22:23], v[74:75]
	v_add_f64_e32 v[0:1], v[20:21], v[0:1]
	v_add_f64_e32 v[2:3], v[22:23], v[2:3]
	s_delay_alu instid0(VALU_DEP_2) | instskip(NEXT) | instid1(VALU_DEP_2)
	v_add_f64_e32 v[0:1], v[56:57], v[0:1]
	v_add_f64_e32 v[2:3], v[58:59], v[2:3]
	v_add_f64_e64 v[56:57], v[32:33], -v[28:29]
	v_add_f64_e32 v[58:59], v[28:29], v[32:33]
	s_delay_alu instid0(VALU_DEP_4) | instskip(NEXT) | instid1(VALU_DEP_4)
	v_add_f64_e32 v[0:1], v[66:67], v[0:1]
	v_add_f64_e32 v[2:3], v[70:71], v[2:3]
	v_mul_f64_e32 v[66:67], s[30:31], v[114:115]
	v_mul_f64_e32 v[70:71], s[30:31], v[56:57]
	s_delay_alu instid0(VALU_DEP_4) | instskip(NEXT) | instid1(VALU_DEP_4)
	v_add_f64_e32 v[0:1], v[128:129], v[0:1]
	v_add_f64_e32 v[2:3], v[130:131], v[2:3]
	s_delay_alu instid0(VALU_DEP_4) | instskip(NEXT) | instid1(VALU_DEP_4)
	v_fma_f64 v[128:129], v[58:59], s[24:25], v[66:67]
	v_fma_f64 v[130:131], v[126:127], s[24:25], -v[70:71]
	s_delay_alu instid0(VALU_DEP_4) | instskip(NEXT) | instid1(VALU_DEP_4)
	v_add_f64_e32 v[0:1], v[132:133], v[0:1]
	v_add_f64_e32 v[2:3], v[134:135], v[2:3]
	s_delay_alu instid0(VALU_DEP_2) | instskip(NEXT) | instid1(VALU_DEP_2)
	v_add_f64_e32 v[0:1], v[128:129], v[0:1]
	v_add_f64_e32 v[2:3], v[130:131], v[2:3]
	v_mul_lo_u16 v128, v170, 13
	scratch_store_b32 off, v128, off offset:24 ; 4-byte Folded Spill
	global_wb scope:SCOPE_SE
	s_wait_storecnt 0x0
	s_barrier_signal -1
	s_barrier_wait -1
	global_inv scope:SCOPE_SE
	s_and_saveexec_b32 s33, vcc_lo
	s_cbranch_execz .LBB0_7
; %bb.6:
	v_add_f64_e32 v[50:51], v[22:23], v[50:51]
	v_add_f64_e32 v[48:49], v[20:21], v[48:49]
	v_mul_f64_e32 v[154:155], s[24:25], v[110:111]
	v_mul_f64_e32 v[160:161], s[30:31], v[108:109]
	;; [unrolled: 1-line block ×7, first 2 shown]
	s_mov_b32 s45, 0x3fedeba7
	s_mov_b32 s44, s26
	;; [unrolled: 1-line block ×10, first 2 shown]
	v_mul_f64_e32 v[130:131], s[10:11], v[116:117]
	v_mul_f64_e32 v[150:151], s[22:23], v[120:121]
	;; [unrolled: 1-line block ×3, first 2 shown]
	s_mov_b32 s37, 0x3fddbe06
	s_mov_b32 s36, s4
	v_mul_f64_e32 v[173:174], s[10:11], v[120:121]
	v_mul_f64_e32 v[175:176], s[16:17], v[116:117]
	;; [unrolled: 1-line block ×14, first 2 shown]
	v_add_f64_e32 v[50:51], v[54:55], v[50:51]
	v_add_f64_e32 v[48:49], v[52:53], v[48:49]
	v_mul_f64_e32 v[54:55], s[6:7], v[110:111]
	v_mul_f64_e32 v[110:111], s[10:11], v[110:111]
	;; [unrolled: 1-line block ×3, first 2 shown]
	v_fma_f64 v[233:234], v[90:91], s[42:43], v[154:155]
	v_fma_f64 v[235:236], v[86:87], s[24:25], v[160:161]
	;; [unrolled: 1-line block ×3, first 2 shown]
	v_fma_f64 v[160:161], v[86:87], s[24:25], -v[160:161]
	v_fma_f64 v[241:242], v[90:91], s[34:35], v[177:178]
	v_fma_f64 v[177:178], v[90:91], s[20:21], v[177:178]
	;; [unrolled: 1-line block ×5, first 2 shown]
	v_fma_f64 v[195:196], v[86:87], s[28:29], -v[195:196]
	v_fma_f64 v[249:250], v[90:91], s[38:39], v[207:208]
	v_fma_f64 v[251:252], v[86:87], s[16:17], v[215:216]
	;; [unrolled: 1-line block ×3, first 2 shown]
	v_fma_f64 v[215:216], v[86:87], s[16:17], -v[215:216]
	v_mul_f64_e32 v[217:218], s[30:31], v[118:119]
	v_mul_f64_e32 v[231:232], s[36:37], v[118:119]
	v_add_f64_e32 v[92:93], v[92:93], v[130:131]
	v_mul_f64_e32 v[132:133], s[28:29], v[64:65]
	v_mul_f64_e32 v[134:135], s[28:29], v[122:123]
	v_fma_f64 v[237:238], v[106:107], s[40:41], v[173:174]
	v_fma_f64 v[239:240], v[94:95], s[18:19], v[175:176]
	;; [unrolled: 1-line block ×4, first 2 shown]
	v_mul_f64_e32 v[148:149], s[10:11], v[122:123]
	v_mul_f64_e32 v[167:168], s[24:25], v[122:123]
	;; [unrolled: 1-line block ×4, first 2 shown]
	v_fma_f64 v[130:131], v[72:73], s[24:25], v[213:214]
	v_fma_f64 v[213:214], v[72:73], s[24:25], -v[213:214]
	v_mul_f64_e32 v[201:202], s[6:7], v[122:123]
	v_mul_f64_e32 v[122:123], s[22:23], v[122:123]
	v_add_f64_e64 v[82:83], v[128:129], -v[82:83]
	v_mul_f64_e32 v[223:224], s[40:41], v[88:89]
	v_add_f64_e32 v[46:47], v[46:47], v[50:51]
	v_add_f64_e32 v[44:45], v[44:45], v[48:49]
	v_mul_f64_e32 v[50:51], s[16:17], v[120:121]
	v_mul_f64_e32 v[120:121], s[24:25], v[120:121]
	v_fma_f64 v[253:254], v[90:91], s[40:41], v[110:111]
	v_fma_f64 v[90:91], v[90:91], s[14:15], v[110:111]
	v_add_f64_e64 v[52:53], v[52:53], -v[96:97]
	v_add_f64_e32 v[54:55], v[98:99], v[54:55]
	v_mul_f64_e32 v[48:49], s[16:17], v[84:85]
	v_fma_f64 v[96:97], v[106:107], s[4:5], v[187:188]
	v_fma_f64 v[98:99], v[94:95], s[20:21], v[189:190]
	v_add_f64_e32 v[154:155], v[22:23], v[154:155]
	v_add_f64_e32 v[235:236], v[20:21], v[235:236]
	;; [unrolled: 1-line block ×14, first 2 shown]
	v_fma_f64 v[128:129], v[84:85], s[6:7], v[231:232]
	v_mul_f64_e32 v[138:139], s[22:23], v[124:125]
	v_mul_f64_e32 v[146:147], s[28:29], v[124:125]
	;; [unrolled: 1-line block ×9, first 2 shown]
	v_add_f64_e32 v[80:81], v[80:81], v[134:135]
	v_add_f64_e64 v[78:79], v[132:133], -v[78:79]
	v_mul_f64_e32 v[136:137], s[22:23], v[62:63]
	v_add_f64_e32 v[42:43], v[42:43], v[46:47]
	v_add_f64_e32 v[40:41], v[40:41], v[44:45]
	v_mul_f64_e32 v[46:47], s[20:21], v[108:109]
	v_mul_f64_e32 v[108:109], s[14:15], v[108:109]
	;; [unrolled: 1-line block ×3, first 2 shown]
	v_add_f64_e32 v[90:91], v[22:23], v[90:91]
	v_add_f64_e32 v[253:254], v[22:23], v[253:254]
	;; [unrolled: 1-line block ×3, first 2 shown]
	v_fma_f64 v[54:55], v[84:85], s[22:23], v[158:159]
	v_fma_f64 v[158:159], v[84:85], s[22:23], -v[158:159]
	v_add_f64_e32 v[50:51], v[104:105], v[50:51]
	v_add_f64_e64 v[48:49], v[48:49], -v[100:101]
	v_fma_f64 v[100:101], v[84:85], s[24:25], v[217:218]
	v_fma_f64 v[217:218], v[84:85], s[24:25], -v[217:218]
	v_add_f64_e32 v[98:99], v[98:99], v[245:246]
	v_mul_f64_e32 v[142:143], s[24:25], v[126:127]
	v_mul_f64_e32 v[144:145], s[16:17], v[126:127]
	;; [unrolled: 1-line block ×3, first 2 shown]
	v_add_f64_e32 v[213:214], v[213:214], v[215:216]
	v_mul_f64_e32 v[179:180], s[26:27], v[114:115]
	v_add_f64_e32 v[130:131], v[130:131], v[251:252]
	v_add_f64_e32 v[175:176], v[175:176], v[177:178]
	v_mul_f64_e32 v[181:182], s[10:11], v[126:127]
	v_add_f64_e32 v[239:240], v[239:240], v[241:242]
	v_mul_f64_e32 v[197:198], s[22:23], v[126:127]
	v_mul_f64_e32 v[209:210], s[20:21], v[114:115]
	;; [unrolled: 1-line block ×4, first 2 shown]
	v_fma_f64 v[241:242], v[60:61], s[44:45], v[146:147]
	v_fma_f64 v[177:178], v[62:63], s[28:29], v[156:157]
	;; [unrolled: 1-line block ×3, first 2 shown]
	v_fma_f64 v[156:157], v[62:63], s[28:29], -v[156:157]
	v_fma_f64 v[245:246], v[60:61], s[4:5], v[165:166]
	v_fma_f64 v[165:166], v[60:61], s[36:37], v[165:166]
	v_fma_f64 v[215:216], v[60:61], s[30:31], v[183:184]
	v_fma_f64 v[183:184], v[60:61], s[42:43], v[183:184]
	v_mul_f64_e32 v[140:141], s[24:25], v[58:59]
	v_add_f64_e32 v[76:77], v[76:77], v[138:139]
	v_add_f64_e32 v[38:39], v[38:39], v[42:43]
	;; [unrolled: 1-line block ×3, first 2 shown]
	v_fma_f64 v[243:244], v[86:87], s[22:23], v[46:47]
	v_fma_f64 v[46:47], v[86:87], s[22:23], -v[46:47]
	v_fma_f64 v[110:111], v[86:87], s[10:11], v[108:109]
	v_fma_f64 v[86:87], v[86:87], s[10:11], -v[108:109]
	v_mul_f64_e32 v[40:41], s[44:45], v[118:119]
	v_fma_f64 v[42:43], v[106:107], s[34:35], v[150:151]
	v_fma_f64 v[118:119], v[94:95], s[4:5], v[152:153]
	;; [unrolled: 1-line block ×8, first 2 shown]
	v_fma_f64 v[44:45], v[84:85], s[10:11], -v[44:45]
	v_add_f64_e32 v[22:23], v[92:93], v[22:23]
	v_fma_f64 v[92:93], v[64:65], s[10:11], v[223:224]
	v_add_f64_e64 v[74:75], v[136:137], -v[74:75]
	v_add_f64_e32 v[70:71], v[70:71], v[142:143]
	v_add_f64_e64 v[66:67], v[140:141], -v[66:67]
	v_add_f64_e32 v[34:35], v[34:35], v[38:39]
	v_add_f64_e32 v[32:33], v[32:33], v[36:37]
	v_fma_f64 v[36:37], v[94:95], s[42:43], v[205:206]
	v_fma_f64 v[38:39], v[106:107], s[44:45], v[203:204]
	;; [unrolled: 1-line block ×7, first 2 shown]
	v_add_f64_e32 v[86:87], v[20:21], v[86:87]
	v_add_f64_e32 v[243:244], v[20:21], v[243:244]
	;; [unrolled: 1-line block ×5, first 2 shown]
	v_fma_f64 v[52:53], v[72:73], s[16:17], v[229:230]
	v_fma_f64 v[229:230], v[72:73], s[16:17], -v[229:230]
	v_fma_f64 v[116:117], v[72:73], s[6:7], v[225:226]
	v_fma_f64 v[225:226], v[72:73], s[6:7], -v[225:226]
	v_add_f64_e32 v[152:153], v[152:153], v[154:155]
	v_mul_f64_e32 v[154:155], s[36:37], v[88:89]
	v_add_f64_e32 v[187:188], v[187:188], v[191:192]
	v_add_f64_e32 v[118:119], v[118:119], v[233:234]
	v_fma_f64 v[191:192], v[68:69], s[30:31], v[167:168]
	v_fma_f64 v[167:168], v[68:69], s[42:43], v[167:168]
	v_add_f64_e32 v[22:23], v[50:51], v[22:23]
	v_mul_f64_e32 v[233:234], s[40:41], v[114:115]
	v_mul_f64_e32 v[114:115], s[36:37], v[114:115]
	v_fma_f64 v[50:51], v[62:63], s[10:11], -v[211:212]
	v_add_f64_e32 v[30:31], v[30:31], v[34:35]
	v_fma_f64 v[34:35], v[72:73], s[28:29], v[219:220]
	v_fma_f64 v[219:220], v[72:73], s[28:29], -v[219:220]
	v_add_f64_e32 v[28:29], v[28:29], v[32:33]
	v_fma_f64 v[32:33], v[72:73], s[22:23], -v[112:113]
	v_fma_f64 v[72:73], v[72:73], s[22:23], v[112:113]
	v_fma_f64 v[112:113], v[84:85], s[6:7], -v[231:232]
	v_fma_f64 v[231:232], v[84:85], s[28:29], v[40:41]
	v_fma_f64 v[40:41], v[84:85], s[28:29], -v[40:41]
	v_mul_f64_e32 v[84:85], s[42:43], v[88:89]
	v_mul_f64_e32 v[88:89], s[34:35], v[88:89]
	v_add_f64_e32 v[203:204], v[203:204], v[207:208]
	v_add_f64_e32 v[90:91], v[94:95], v[90:91]
	;; [unrolled: 1-line block ×9, first 2 shown]
	v_mul_f64_e32 v[235:236], s[42:43], v[102:103]
	v_mul_f64_e32 v[102:103], s[38:39], v[102:103]
	v_fma_f64 v[243:244], v[68:69], s[14:15], v[148:149]
	v_fma_f64 v[148:149], v[68:69], s[40:41], v[148:149]
	;; [unrolled: 1-line block ×6, first 2 shown]
	v_fma_f64 v[134:135], v[64:65], s[6:7], -v[154:155]
	v_add_f64_e32 v[42:43], v[42:43], v[118:119]
	v_add_f64_e32 v[118:119], v[237:238], v[239:240]
	;; [unrolled: 1-line block ×3, first 2 shown]
	v_fma_f64 v[225:226], v[56:57], s[18:19], v[144:145]
	v_fma_f64 v[144:145], v[56:57], s[38:39], v[144:145]
	;; [unrolled: 1-line block ×6, first 2 shown]
	v_add_f64_e32 v[26:27], v[26:27], v[30:31]
	v_add_f64_e32 v[34:35], v[34:35], v[110:111]
	;; [unrolled: 1-line block ×6, first 2 shown]
	v_fma_f64 v[219:220], v[64:65], s[16:17], v[193:194]
	v_fma_f64 v[193:194], v[64:65], s[16:17], -v[193:194]
	v_fma_f64 v[28:29], v[68:69], s[4:5], v[201:202]
	v_fma_f64 v[30:31], v[68:69], s[36:37], v[201:202]
	;; [unrolled: 1-line block ×3, first 2 shown]
	v_fma_f64 v[110:111], v[64:65], s[10:11], -v[223:224]
	v_fma_f64 v[122:123], v[64:65], s[24:25], v[84:85]
	v_fma_f64 v[84:85], v[64:65], s[24:25], -v[84:85]
	v_fma_f64 v[154:155], v[64:65], s[22:23], v[88:89]
	v_fma_f64 v[64:65], v[64:65], s[22:23], -v[88:89]
	v_add_f64_e32 v[38:39], v[38:39], v[203:204]
	v_add_f64_e32 v[90:91], v[106:107], v[90:91]
	v_add_f64_e32 v[40:41], v[40:41], v[213:214]
	v_add_f64_e32 v[44:45], v[44:45], v[46:47]
	v_add_f64_e32 v[46:47], v[96:97], v[98:99]
	v_add_f64_e32 v[96:97], v[108:109], v[187:188]
	v_add_f64_e32 v[54:55], v[54:55], v[116:117]
	v_add_f64_e32 v[116:117], v[158:159], v[160:161]
	v_add_f64_e32 v[52:53], v[104:105], v[52:53]
	v_add_f64_e32 v[104:105], v[173:174], v[175:176]
	v_add_f64_e32 v[88:89], v[150:151], v[152:153]
	v_add_f64_e32 v[36:37], v[189:190], v[36:37]
	v_add_f64_e32 v[98:99], v[231:232], v[130:131]
	v_add_f64_e32 v[106:107], v[205:206], v[120:121]
	v_add_f64_e32 v[20:21], v[48:49], v[20:21]
	v_fma_f64 v[48:49], v[60:61], s[14:15], v[199:200]
	v_fma_f64 v[108:109], v[62:63], s[6:7], v[227:228]
	v_fma_f64 v[120:121], v[62:63], s[24:25], v[235:236]
	v_add_f64_e32 v[42:43], v[243:244], v[42:43]
	v_fma_f64 v[195:196], v[58:59], s[28:29], v[179:180]
	v_fma_f64 v[179:180], v[58:59], s[28:29], -v[179:180]
	v_fma_f64 v[80:81], v[58:59], s[22:23], v[209:210]
	v_add_f64_e32 v[18:19], v[18:19], v[26:27]
	v_add_f64_e32 v[34:35], v[100:101], v[34:35]
	;; [unrolled: 1-line block ×6, first 2 shown]
	v_fma_f64 v[24:25], v[60:61], s[40:41], v[199:200]
	v_fma_f64 v[26:27], v[62:63], s[10:11], v[211:212]
	;; [unrolled: 1-line block ×4, first 2 shown]
	v_fma_f64 v[112:113], v[62:63], s[6:7], -v[227:228]
	v_fma_f64 v[124:125], v[62:63], s[24:25], -v[235:236]
	v_fma_f64 v[128:129], v[62:63], s[16:17], v[102:103]
	v_fma_f64 v[62:63], v[62:63], s[16:17], -v[102:103]
	v_add_f64_e32 v[102:103], v[191:192], v[118:119]
	v_add_f64_e32 v[76:77], v[76:77], v[22:23]
	;; [unrolled: 1-line block ×15, first 2 shown]
	v_fma_f64 v[90:91], v[56:57], s[4:5], v[126:127]
	v_fma_f64 v[94:95], v[58:59], s[10:11], v[233:234]
	v_fma_f64 v[96:97], v[58:59], s[10:11], -v[233:234]
	v_fma_f64 v[98:99], v[58:59], s[6:7], v[114:115]
	v_add_f64_e32 v[42:43], v[241:242], v[42:43]
	v_add_f64_e32 v[14:15], v[14:15], v[18:19]
	;; [unrolled: 1-line block ×9, first 2 shown]
	v_fma_f64 v[78:79], v[56:57], s[34:35], v[197:198]
	v_fma_f64 v[82:83], v[56:57], s[20:21], v[197:198]
	v_fma_f64 v[86:87], v[58:59], s[22:23], -v[209:210]
	v_fma_f64 v[56:57], v[56:57], s[36:37], v[126:127]
	v_fma_f64 v[18:19], v[58:59], s[16:17], v[221:222]
	v_fma_f64 v[20:21], v[58:59], s[16:17], -v[221:222]
	v_fma_f64 v[58:59], v[58:59], s[6:7], -v[114:115]
	v_add_f64_e32 v[102:103], v[245:246], v[102:103]
	v_add_f64_e32 v[48:49], v[48:49], v[30:31]
	;; [unrolled: 1-line block ×35, first 2 shown]
	v_mul_lo_u16 v52, v170, 13
	s_delay_alu instid0(VALU_DEP_1) | instskip(SKIP_1) | instid1(VALU_DEP_2)
	v_and_b32_e32 v52, 0xffff, v52
	v_add_f64_e32 v[6:7], v[6:7], v[106:107]
	v_lshlrev_b32_e32 v52, 4, v52
	v_add_f64_e32 v[36:37], v[58:59], v[60:61]
	v_add_f64_e32 v[42:43], v[78:79], v[64:65]
	v_add_f64_e32 v[28:29], v[96:97], v[50:51]
	v_add_f64_e32 v[24:25], v[94:95], v[62:63]
	v_add_f64_e32 v[40:41], v[80:81], v[68:69]
	v_add_f64_e32 v[46:47], v[90:91], v[72:73]
	v_add_f64_e32 v[44:45], v[98:99], v[100:101]
	v_add_f64_e32 v[4:5], v[4:5], v[108:109]
	v_add_f64_e32 v[50:51], v[70:71], v[76:77]
	v_add_f64_e32 v[48:49], v[66:67], v[74:75]
	ds_store_b128 v52, v[36:39] offset:32
	ds_store_b128 v52, v[32:35] offset:48
	;; [unrolled: 1-line block ×10, first 2 shown]
	ds_store_b128 v52, v[4:7]
	ds_store_b128 v52, v[48:51] offset:16
	ds_store_b128 v52, v[0:3] offset:192
.LBB0_7:
	s_or_b32 exec_lo, exec_lo, s33
	v_add_co_u32 v36, null, 0x9c, v170
	v_add_co_u32 v37, null, 0x138, v170
	v_and_b32_e32 v112, 0xff, v170
	s_delay_alu instid0(VALU_DEP_3) | instskip(SKIP_1) | instid1(VALU_DEP_4)
	v_and_b32_e32 v46, 0xffff, v36
	v_add_co_u32 v4, null, 0x1d4, v170
	v_and_b32_e32 v39, 0xffff, v37
	s_delay_alu instid0(VALU_DEP_4) | instskip(NEXT) | instid1(VALU_DEP_4)
	v_mul_lo_u16 v6, 0x4f, v112
	v_mul_u32_u24_e32 v5, 0x4ec5, v46
	s_delay_alu instid0(VALU_DEP_4)
	v_and_b32_e32 v7, 0xffff, v4
	s_load_b128 s[4:7], s[2:3], 0x0
	v_mul_u32_u24_e32 v8, 0x4ec5, v39
	v_lshrrev_b16 v47, 10, v6
	v_lshrrev_b32_e32 v38, 18, v5
	v_mul_u32_u24_e32 v5, 0x4ec5, v7
	global_wb scope:SCOPE_SE
	s_wait_dscnt 0x0
	v_lshrrev_b32_e32 v40, 18, v8
	v_mul_lo_u16 v7, v47, 13
	v_mul_lo_u16 v6, v38, 13
	v_lshrrev_b32_e32 v41, 18, v5
	s_wait_kmcnt 0x0
	s_barrier_signal -1
	v_mul_lo_u16 v5, v40, 13
	s_barrier_wait -1
	v_sub_nc_u16 v42, v36, v6
	v_sub_nc_u16 v6, v170, v7
	v_mul_lo_u16 v7, v41, 13
	v_sub_nc_u16 v43, v37, v5
	global_inv scope:SCOPE_SE
	v_lshlrev_b16 v5, 1, v42
	v_and_b32_e32 v45, 0xff, v6
	v_sub_nc_u16 v44, v4, v7
	v_lshlrev_b16 v4, 1, v43
	v_and_b32_e32 v48, 0xffff, v170
	v_and_b32_e32 v5, 0xffff, v5
	v_lshlrev_b32_e32 v6, 5, v45
	v_lshlrev_b16 v7, 1, v44
	v_and_b32_e32 v4, 0xffff, v4
	v_lshlrev_b32_e32 v171, 4, v48
	s_clause 0x1
	global_load_b128 v[243:246], v6, s[0:1]
	global_load_b128 v[231:234], v6, s[0:1] offset:16
	v_and_b32_e32 v6, 0xffff, v7
	v_lshlrev_b32_e32 v5, 4, v5
	v_lshlrev_b32_e32 v4, 4, v4
	s_clause 0x1
	global_load_b128 v[247:250], v5, s[0:1]
	global_load_b128 v[235:238], v5, s[0:1] offset:16
	v_lshlrev_b32_e32 v28, 4, v6
	s_clause 0x3
	global_load_b128 v[239:242], v4, s[0:1]
	global_load_b128 v[174:177], v4, s[0:1] offset:16
	global_load_b128 v[4:7], v28, s[0:1]
	global_load_b128 v[251:254], v28, s[0:1] offset:16
	ds_load_b128 v[48:51], v171 offset:9984
	ds_load_b128 v[52:55], v171 offset:19968
	;; [unrolled: 1-line block ×8, first 2 shown]
	v_mul_lo_u16 v112, 0xa5, v112
	v_mul_u32_u24_e32 v46, 0xa41b, v46
	v_and_b32_e32 v47, 0xffff, v47
	v_mul_u32_u24_e32 v39, 0xa41b, v39
	v_mad_u16 v38, v38, 39, v42
	v_lshrrev_b16 v134, 8, v112
	v_lshrrev_b32_e32 v135, 16, v46
	v_mul_u32_u24_e32 v136, 39, v47
	v_lshrrev_b32_e32 v39, 16, v39
	v_mad_u16 v40, v40, 39, v43
	v_sub_nc_u16 v112, v170, v134
	v_sub_nc_u16 v138, v36, v135
	v_add_lshl_u32 v179, v136, v45, 4
	v_sub_nc_u16 v139, v37, v39
	v_mad_u16 v136, v41, 39, v44
	v_lshrrev_b16 v137, 1, v112
	s_mov_b32 s2, 0xe8584caa
	s_mov_b32 s3, 0x3febb67a
	;; [unrolled: 1-line block ×3, first 2 shown]
	s_wait_alu 0xfffe
	s_mov_b32 s10, s2
	v_lshlrev_b32_e32 v173, 4, v170
	s_wait_loadcnt_dscnt 0x707
	v_mul_f64_e32 v[80:81], v[50:51], v[245:246]
	v_mul_f64_e32 v[82:83], v[48:49], v[245:246]
	s_wait_loadcnt_dscnt 0x606
	v_mul_f64_e32 v[84:85], v[54:55], v[233:234]
	v_mul_f64_e32 v[86:87], v[52:53], v[233:234]
	s_wait_loadcnt_dscnt 0x505
	v_mul_f64_e32 v[88:89], v[58:59], v[249:250]
	s_wait_loadcnt_dscnt 0x404
	v_mul_f64_e32 v[90:91], v[62:63], v[237:238]
	v_mul_f64_e32 v[92:93], v[56:57], v[249:250]
	v_mul_f64_e32 v[94:95], v[60:61], v[237:238]
	s_wait_loadcnt_dscnt 0x303
	v_mul_f64_e32 v[96:97], v[66:67], v[241:242]
	v_mul_f64_e32 v[98:99], v[64:65], v[241:242]
	s_wait_loadcnt_dscnt 0x202
	v_mul_f64_e32 v[100:101], v[70:71], v[176:177]
	v_mul_f64_e32 v[102:103], v[68:69], v[176:177]
	;; [unrolled: 3-line block ×4, first 2 shown]
	scratch_store_b128 off, v[4:7], off     ; 16-byte Folded Spill
	v_fma_f64 v[80:81], v[48:49], v[243:244], -v[80:81]
	v_fma_f64 v[82:83], v[50:51], v[243:244], v[82:83]
	v_fma_f64 v[84:85], v[52:53], v[231:232], -v[84:85]
	v_fma_f64 v[86:87], v[54:55], v[231:232], v[86:87]
	ds_load_b128 v[48:51], v171
	ds_load_b128 v[52:55], v171 offset:2496
	v_fma_f64 v[88:89], v[56:57], v[247:248], -v[88:89]
	v_fma_f64 v[90:91], v[60:61], v[235:236], -v[90:91]
	v_fma_f64 v[92:93], v[58:59], v[247:248], v[92:93]
	v_fma_f64 v[94:95], v[62:63], v[235:236], v[94:95]
	v_fma_f64 v[64:65], v[64:65], v[239:240], -v[96:97]
	v_fma_f64 v[66:67], v[66:67], v[239:240], v[98:99]
	v_fma_f64 v[68:69], v[68:69], v[174:175], -v[100:101]
	;; [unrolled: 2-line block ×4, first 2 shown]
	v_fma_f64 v[78:79], v[78:79], v[251:252], v[110:111]
	ds_load_b128 v[56:59], v171 offset:4992
	ds_load_b128 v[60:63], v171 offset:7488
	global_wb scope:SCOPE_SE
	s_wait_storecnt_dscnt 0x0
	s_barrier_signal -1
	s_barrier_wait -1
	global_inv scope:SCOPE_SE
	v_add_f64_e32 v[46:47], v[48:49], v[80:81]
	v_add_f64_e32 v[96:97], v[80:81], v[84:85]
	;; [unrolled: 1-line block ×3, first 2 shown]
	v_add_f64_e64 v[112:113], v[82:83], -v[86:87]
	v_add_f64_e32 v[82:83], v[50:51], v[82:83]
	v_add_f64_e64 v[80:81], v[80:81], -v[84:85]
	v_add_f64_e32 v[114:115], v[52:53], v[88:89]
	v_add_f64_e32 v[100:101], v[88:89], v[90:91]
	;; [unrolled: 1-line block ×5, first 2 shown]
	v_add_f64_e64 v[92:93], v[92:93], -v[94:95]
	v_add_f64_e32 v[104:105], v[64:65], v[68:69]
	v_add_f64_e32 v[106:107], v[66:67], v[70:71]
	;; [unrolled: 1-line block ×3, first 2 shown]
	v_add_f64_e64 v[88:89], v[88:89], -v[90:91]
	v_add_f64_e32 v[108:109], v[72:73], v[76:77]
	v_add_f64_e32 v[110:111], v[74:75], v[78:79]
	v_add_f64_e64 v[126:127], v[66:67], -v[70:71]
	v_add_f64_e64 v[128:129], v[64:65], -v[68:69]
	v_add_f64_e32 v[120:121], v[58:59], v[66:67]
	v_add_f64_e32 v[124:125], v[62:63], v[74:75]
	v_add_f64_e64 v[130:131], v[74:75], -v[78:79]
	v_add_f64_e64 v[132:133], v[72:73], -v[76:77]
	v_fma_f64 v[96:97], v[96:97], -0.5, v[48:49]
	v_fma_f64 v[98:99], v[98:99], -0.5, v[50:51]
	v_and_b32_e32 v48, 0x7f, v137
	v_lshrrev_b16 v50, 1, v139
	v_lshrrev_b16 v49, 1, v138
	v_fma_f64 v[100:101], v[100:101], -0.5, v[52:53]
	s_delay_alu instid0(VALU_DEP_4)
	v_add_nc_u16 v41, v48, v134
	v_fma_f64 v[102:103], v[102:103], -0.5, v[54:55]
	v_add_nc_u16 v39, v50, v39
	v_add_nc_u16 v42, v49, v135
	v_fma_f64 v[104:105], v[104:105], -0.5, v[56:57]
	v_fma_f64 v[106:107], v[106:107], -0.5, v[58:59]
	v_and_b32_e32 v134, 0xffff, v38
	v_and_b32_e32 v135, 0xffff, v40
	v_fma_f64 v[108:109], v[108:109], -0.5, v[60:61]
	v_fma_f64 v[110:111], v[110:111], -0.5, v[62:63]
	v_lshrrev_b16 v137, 5, v41
	v_lshrrev_b16 v149, 5, v39
	v_add_f64_e32 v[38:39], v[46:47], v[84:85]
	v_add_f64_e32 v[40:41], v[82:83], v[86:87]
	;; [unrolled: 1-line block ×6, first 2 shown]
	v_lshrrev_b16 v148, 5, v42
	v_add_f64_e32 v[42:43], v[114:115], v[90:91]
	v_add_f64_e32 v[44:45], v[116:117], v[94:95]
	v_and_b32_e32 v150, 7, v137
	v_and_b32_e32 v86, 0xffff, v136
	v_mul_lo_u16 v87, v148, 39
	v_lshlrev_b32_e32 v5, 4, v134
	v_lshlrev_b32_e32 v4, 4, v135
	s_delay_alu instid0(VALU_DEP_4) | instskip(NEXT) | instid1(VALU_DEP_4)
	v_lshlrev_b32_e32 v178, 4, v86
	v_sub_nc_u16 v151, v36, v87
	v_fma_f64 v[54:55], v[112:113], s[2:3], v[96:97]
	s_wait_alu 0xfffe
	v_fma_f64 v[56:57], v[80:81], s[10:11], v[98:99]
	v_fma_f64 v[58:59], v[112:113], s[10:11], v[96:97]
	v_fma_f64 v[60:61], v[80:81], s[2:3], v[98:99]
	v_fma_f64 v[66:67], v[92:93], s[10:11], v[100:101]
	v_fma_f64 v[62:63], v[92:93], s[2:3], v[100:101]
	v_fma_f64 v[68:69], v[88:89], s[2:3], v[102:103]
	v_fma_f64 v[64:65], v[88:89], s[10:11], v[102:103]
	v_mul_lo_u16 v89, v150, 39
	v_fma_f64 v[74:75], v[126:127], s[10:11], v[104:105]
	v_fma_f64 v[76:77], v[128:129], s[2:3], v[106:107]
	;; [unrolled: 1-line block ×8, first 2 shown]
	v_mul_lo_u16 v88, v149, 39
	v_sub_nc_u16 v36, v170, v89
	ds_store_b128 v179, v[38:41]
	ds_store_b128 v179, v[54:57] offset:208
	ds_store_b128 v179, v[58:61] offset:416
	ds_store_b128 v5, v[42:45]
	ds_store_b128 v5, v[62:65] offset:208
	v_sub_nc_u16 v152, v37, v88
	v_mul_lo_u16 v37, v151, 48
	v_and_b32_e32 v153, 0xff, v36
	scratch_store_b32 off, v5, off offset:20 ; 4-byte Folded Spill
	ds_store_b128 v5, v[66:69] offset:416
	ds_store_b128 v4, v[46:49]
	ds_store_b128 v4, v[70:73] offset:208
	v_mul_lo_u16 v86, v152, 48
	v_and_b32_e32 v87, 0xffff, v37
	v_mad_co_u64_u32 v[36:37], null, v153, 48, s[0:1]
	scratch_store_b32 off, v4, off offset:16 ; 4-byte Folded Spill
	v_and_b32_e32 v88, 0xffff, v86
	v_add_co_u32 v86, s14, s0, v87
	s_wait_alu 0xf1ff
	v_add_co_ci_u32_e64 v87, null, s1, 0, s14
	ds_store_b128 v4, v[74:77] offset:416
	ds_store_b128 v178, v[50:53]
	ds_store_b128 v178, v[78:81] offset:208
	ds_store_b128 v178, v[82:85] offset:416
	global_wb scope:SCOPE_SE
	s_wait_storecnt_dscnt 0x0
	s_barrier_signal -1
	s_barrier_wait -1
	global_inv scope:SCOPE_SE
	s_clause 0x3
	global_load_b128 v[68:71], v[36:37], off offset:416
	global_load_b128 v[64:67], v[36:37], off offset:432
	;; [unrolled: 1-line block ×4, first 2 shown]
	v_add_co_u32 v36, s14, s0, v88
	s_wait_alu 0xf1ff
	v_add_co_ci_u32_e64 v37, null, s1, 0, s14
	s_clause 0x4
	global_load_b128 v[60:63], v[86:87], off offset:432
	global_load_b128 v[48:51], v[86:87], off offset:448
	;; [unrolled: 1-line block ×5, first 2 shown]
	ds_load_b128 v[36:39], v171 offset:7488
	ds_load_b128 v[40:43], v171 offset:14976
	;; [unrolled: 1-line block ×10, first 2 shown]
	s_wait_loadcnt_dscnt 0x809
	v_mul_f64_e32 v[112:113], v[38:39], v[70:71]
	v_mul_f64_e32 v[114:115], v[36:37], v[70:71]
	s_wait_loadcnt_dscnt 0x708
	v_mul_f64_e32 v[116:117], v[42:43], v[66:67]
	v_mul_f64_e32 v[118:119], v[40:41], v[66:67]
	;; [unrolled: 3-line block ×9, first 2 shown]
	v_fma_f64 v[112:113], v[36:37], v[68:69], -v[112:113]
	v_fma_f64 v[114:115], v[38:39], v[68:69], v[114:115]
	v_fma_f64 v[116:117], v[40:41], v[64:65], -v[116:117]
	v_fma_f64 v[118:119], v[42:43], v[64:65], v[118:119]
	;; [unrolled: 2-line block ×9, first 2 shown]
	ds_load_b128 v[36:39], v171
	ds_load_b128 v[40:43], v171 offset:2496
	global_wb scope:SCOPE_SE
	s_wait_dscnt 0x0
	s_barrier_signal -1
	s_barrier_wait -1
	global_inv scope:SCOPE_SE
	v_add_f64_e64 v[116:117], v[36:37], -v[116:117]
	v_add_f64_e64 v[118:119], v[38:39], -v[118:119]
	;; [unrolled: 1-line block ×12, first 2 shown]
	v_fma_f64 v[104:105], v[36:37], 2.0, -v[116:117]
	v_fma_f64 v[126:127], v[38:39], 2.0, -v[118:119]
	;; [unrolled: 1-line block ×4, first 2 shown]
	v_add_f64_e64 v[36:37], v[116:117], -v[46:47]
	v_add_f64_e32 v[38:39], v[118:119], v[44:45]
	v_fma_f64 v[112:113], v[40:41], 2.0, -v[120:121]
	v_fma_f64 v[114:115], v[42:43], 2.0, -v[122:123]
	;; [unrolled: 1-line block ×4, first 2 shown]
	v_add_f64_e64 v[40:41], v[120:121], -v[90:91]
	v_fma_f64 v[128:129], v[108:109], 2.0, -v[92:93]
	v_fma_f64 v[130:131], v[110:111], 2.0, -v[124:125]
	;; [unrolled: 1-line block ×4, first 2 shown]
	v_add_f64_e32 v[90:91], v[124:125], v[100:101]
	v_add_f64_e64 v[44:45], v[104:105], -v[102:103]
	v_add_f64_e64 v[46:47], v[126:127], -v[106:107]
	v_fma_f64 v[100:101], v[118:119], 2.0, -v[38:39]
	v_add_f64_e64 v[84:85], v[112:113], -v[42:43]
	v_add_f64_e64 v[86:87], v[114:115], -v[86:87]
	v_add_f64_e32 v[42:43], v[122:123], v[88:89]
	v_add_f64_e64 v[88:89], v[92:93], -v[94:95]
	v_fma_f64 v[102:103], v[120:121], 2.0, -v[40:41]
	v_add_f64_e64 v[94:95], v[128:129], -v[96:97]
	v_add_f64_e64 v[96:97], v[130:131], -v[98:99]
	v_fma_f64 v[98:99], v[116:117], 2.0, -v[36:37]
	v_fma_f64 v[116:117], v[124:125], 2.0, -v[90:91]
	;; [unrolled: 1-line block ×8, first 2 shown]
	v_and_b32_e32 v92, 0xffff, v150
	v_mad_u16 v93, 0x9c, v148, v151
	v_fma_f64 v[118:119], v[128:129], 2.0, -v[94:95]
	v_fma_f64 v[120:121], v[130:131], 2.0, -v[96:97]
	v_mad_u16 v122, 0x9c, v149, v152
	v_mul_u32_u24_e32 v123, 0x9c, v92
	v_and_b32_e32 v124, 0xffff, v93
	v_mad_co_u64_u32 v[92:93], null, 0x50, v170, s[0:1]
	s_delay_alu instid0(VALU_DEP_4) | instskip(NEXT) | instid1(VALU_DEP_4)
	v_and_b32_e32 v122, 0xffff, v122
	v_add_lshl_u32 v180, v123, v153, 4
	s_delay_alu instid0(VALU_DEP_4) | instskip(NEXT) | instid1(VALU_DEP_3)
	v_lshlrev_b32_e32 v164, 4, v124
	v_lshlrev_b32_e32 v172, 4, v122
	ds_store_b128 v180, v[44:47] offset:1248
	ds_store_b128 v180, v[36:39] offset:1872
	ds_store_b128 v180, v[106:109]
	ds_store_b128 v180, v[98:101] offset:624
	ds_store_b128 v164, v[110:113]
	ds_store_b128 v164, v[102:105] offset:624
	ds_store_b128 v164, v[84:87] offset:1248
	;; [unrolled: 1-line block ×3, first 2 shown]
	ds_store_b128 v172, v[118:121]
	ds_store_b128 v172, v[114:117] offset:624
	ds_store_b128 v172, v[94:97] offset:1248
	;; [unrolled: 1-line block ×3, first 2 shown]
	global_wb scope:SCOPE_SE
	s_wait_dscnt 0x0
	s_barrier_signal -1
	s_barrier_wait -1
	global_inv scope:SCOPE_SE
	s_clause 0x4
	global_load_b128 v[84:87], v[92:93], off offset:2320
	global_load_b128 v[88:91], v[92:93], off offset:2352
	;; [unrolled: 1-line block ×5, first 2 shown]
	ds_load_b128 v[94:97], v171 offset:14976
	ds_load_b128 v[98:101], v171 offset:24960
	;; [unrolled: 1-line block ×6, first 2 shown]
	s_wait_loadcnt_dscnt 0x405
	v_mul_f64_e32 v[118:119], v[96:97], v[86:87]
	v_mul_f64_e32 v[120:121], v[94:95], v[86:87]
	s_wait_loadcnt_dscnt 0x304
	v_mul_f64_e32 v[122:123], v[98:99], v[90:91]
	v_mul_f64_e32 v[124:125], v[100:101], v[90:91]
	s_wait_dscnt 0x3
	v_mul_f64_e32 v[126:127], v[104:105], v[86:87]
	v_mul_f64_e32 v[128:129], v[102:103], v[86:87]
	s_wait_dscnt 0x2
	v_mul_f64_e32 v[130:131], v[106:107], v[90:91]
	v_mul_f64_e32 v[132:133], v[108:109], v[90:91]
	s_wait_loadcnt_dscnt 0x201
	v_mul_f64_e32 v[134:135], v[112:113], v[38:39]
	v_mul_f64_e32 v[136:137], v[110:111], v[38:39]
	s_wait_dscnt 0x0
	v_mul_f64_e32 v[138:139], v[116:117], v[38:39]
	v_mul_f64_e32 v[140:141], v[114:115], v[38:39]
	v_fma_f64 v[118:119], v[94:95], v[84:85], -v[118:119]
	v_fma_f64 v[120:121], v[96:97], v[84:85], v[120:121]
	v_fma_f64 v[122:123], v[100:101], v[88:89], v[122:123]
	v_fma_f64 v[124:125], v[98:99], v[88:89], -v[124:125]
	v_fma_f64 v[126:127], v[102:103], v[84:85], -v[126:127]
	v_fma_f64 v[128:129], v[104:105], v[84:85], v[128:129]
	v_fma_f64 v[130:131], v[108:109], v[88:89], v[130:131]
	v_fma_f64 v[132:133], v[106:107], v[88:89], -v[132:133]
	ds_load_b128 v[94:97], v171 offset:9984
	ds_load_b128 v[98:101], v171 offset:19968
	;; [unrolled: 1-line block ×4, first 2 shown]
	v_fma_f64 v[110:111], v[110:111], v[36:37], -v[134:135]
	v_fma_f64 v[112:113], v[112:113], v[36:37], v[136:137]
	v_fma_f64 v[114:115], v[114:115], v[36:37], -v[138:139]
	v_fma_f64 v[116:117], v[116:117], v[36:37], v[140:141]
	s_wait_loadcnt_dscnt 0x103
	v_mul_f64_e32 v[142:143], v[96:97], v[46:47]
	v_mul_f64_e32 v[144:145], v[94:95], v[46:47]
	s_wait_loadcnt_dscnt 0x2
	v_mul_f64_e32 v[146:147], v[100:101], v[42:43]
	v_mul_f64_e32 v[148:149], v[98:99], v[42:43]
	s_wait_dscnt 0x1
	v_mul_f64_e32 v[150:151], v[104:105], v[46:47]
	v_mul_f64_e32 v[152:153], v[102:103], v[46:47]
	s_wait_dscnt 0x0
	v_mul_f64_e32 v[154:155], v[108:109], v[42:43]
	v_mul_f64_e32 v[156:157], v[106:107], v[42:43]
	v_add_f64_e32 v[134:135], v[120:121], v[122:123]
	v_add_f64_e32 v[136:137], v[118:119], v[124:125]
	;; [unrolled: 1-line block ×4, first 2 shown]
	v_fma_f64 v[142:143], v[94:95], v[44:45], -v[142:143]
	v_fma_f64 v[144:145], v[96:97], v[44:45], v[144:145]
	v_fma_f64 v[146:147], v[98:99], v[40:41], -v[146:147]
	v_fma_f64 v[148:149], v[100:101], v[40:41], v[148:149]
	v_add_f64_e64 v[94:95], v[120:121], -v[122:123]
	v_add_f64_e64 v[96:97], v[118:119], -v[124:125]
	v_fma_f64 v[102:103], v[102:103], v[44:45], -v[150:151]
	v_fma_f64 v[104:105], v[104:105], v[44:45], v[152:153]
	v_fma_f64 v[106:107], v[106:107], v[40:41], -v[154:155]
	v_fma_f64 v[108:109], v[108:109], v[40:41], v[156:157]
	v_fma_f64 v[98:99], v[134:135], -0.5, v[112:113]
	v_fma_f64 v[100:101], v[136:137], -0.5, v[110:111]
	v_add_f64_e64 v[134:135], v[128:129], -v[130:131]
	v_add_f64_e64 v[136:137], v[126:127], -v[132:133]
	v_fma_f64 v[138:139], v[138:139], -0.5, v[116:117]
	v_fma_f64 v[140:141], v[140:141], -0.5, v[114:115]
	v_add_f64_e32 v[110:111], v[110:111], v[118:119]
	v_add_f64_e32 v[112:113], v[112:113], v[120:121]
	v_add_f64_e32 v[114:115], v[114:115], v[126:127]
	v_add_f64_e32 v[116:117], v[116:117], v[128:129]
	v_add_f64_e32 v[150:151], v[142:143], v[146:147]
	v_add_f64_e32 v[152:153], v[144:145], v[148:149]
	v_add_f64_e64 v[126:127], v[142:143], -v[146:147]
	v_add_f64_e32 v[162:163], v[102:103], v[106:107]
	v_add_f64_e32 v[165:166], v[104:105], v[108:109]
	v_fma_f64 v[154:155], v[96:97], s[10:11], v[98:99]
	v_fma_f64 v[158:159], v[94:95], s[2:3], v[100:101]
	;; [unrolled: 1-line block ×8, first 2 shown]
	ds_load_b128 v[94:97], v171
	ds_load_b128 v[98:101], v171 offset:2496
	v_add_f64_e64 v[140:141], v[144:145], -v[148:149]
	v_add_f64_e32 v[110:111], v[110:111], v[124:125]
	v_add_f64_e32 v[112:113], v[112:113], v[122:123]
	;; [unrolled: 1-line block ×4, first 2 shown]
	global_wb scope:SCOPE_SE
	s_wait_dscnt 0x0
	s_barrier_signal -1
	s_barrier_wait -1
	global_inv scope:SCOPE_SE
	v_add_f64_e32 v[138:139], v[94:95], v[142:143]
	v_add_f64_e32 v[144:145], v[96:97], v[144:145]
	;; [unrolled: 1-line block ×3, first 2 shown]
	v_fma_f64 v[94:95], v[150:151], -0.5, v[94:95]
	v_fma_f64 v[96:97], v[152:153], -0.5, v[96:97]
	v_add_f64_e32 v[120:121], v[100:101], v[104:105]
	v_add_f64_e64 v[104:105], v[104:105], -v[108:109]
	v_fma_f64 v[98:99], v[162:163], -0.5, v[98:99]
	v_add_f64_e64 v[102:103], v[102:103], -v[106:107]
	v_fma_f64 v[100:101], v[165:166], -0.5, v[100:101]
	v_mul_f64_e32 v[128:129], s[2:3], v[154:155]
	v_mul_f64_e32 v[150:151], s[10:11], v[158:159]
	v_mul_f64_e32 v[142:143], -0.5, v[156:157]
	v_mul_f64_e32 v[152:153], -0.5, v[160:161]
	v_mul_f64_e32 v[162:163], s[2:3], v[167:168]
	v_mul_f64_e32 v[165:166], -0.5, v[181:182]
	v_mul_f64_e32 v[183:184], s[10:11], v[134:135]
	v_mul_f64_e32 v[185:186], -0.5, v[136:137]
	v_add_f64_e32 v[138:139], v[138:139], v[146:147]
	v_add_f64_e32 v[144:145], v[144:145], v[148:149]
	;; [unrolled: 1-line block ×3, first 2 shown]
	v_fma_f64 v[118:119], v[140:141], s[2:3], v[94:95]
	v_fma_f64 v[124:125], v[126:127], s[10:11], v[96:97]
	v_add_f64_e32 v[108:109], v[120:121], v[108:109]
	v_fma_f64 v[120:121], v[140:141], s[10:11], v[94:95]
	v_fma_f64 v[126:127], v[126:127], s[2:3], v[96:97]
	;; [unrolled: 1-line block ×4, first 2 shown]
	v_fma_f64 v[122:123], v[158:159], 0.5, v[128:129]
	v_fma_f64 v[130:131], v[154:155], 0.5, v[150:151]
	v_fma_f64 v[128:129], v[160:161], s[2:3], v[142:143]
	v_fma_f64 v[132:133], v[156:157], s[10:11], v[152:153]
	v_fma_f64 v[134:135], v[134:135], 0.5, v[162:163]
	v_fma_f64 v[142:143], v[104:105], s[10:11], v[98:99]
	v_fma_f64 v[150:151], v[167:168], 0.5, v[183:184]
	v_fma_f64 v[148:149], v[102:103], s[2:3], v[100:101]
	v_fma_f64 v[136:137], v[136:137], s[2:3], v[165:166]
	v_fma_f64 v[152:153], v[181:182], s[10:11], v[185:186]
	v_add_f64_e32 v[94:95], v[138:139], v[110:111]
	v_add_f64_e32 v[96:97], v[144:145], v[112:113]
	v_add_f64_e64 v[98:99], v[138:139], -v[110:111]
	v_add_f64_e64 v[100:101], v[144:145], -v[112:113]
	v_add_f64_e32 v[102:103], v[106:107], v[114:115]
	v_add_f64_e32 v[104:105], v[108:109], v[116:117]
	v_add_f64_e64 v[106:107], v[106:107], -v[114:115]
	v_add_f64_e64 v[108:109], v[108:109], -v[116:117]
	v_add_f64_e32 v[110:111], v[118:119], v[122:123]
	v_add_f64_e32 v[112:113], v[124:125], v[130:131]
	v_add_f64_e32 v[114:115], v[120:121], v[128:129]
	v_add_f64_e32 v[116:117], v[126:127], v[132:133]
	v_add_f64_e64 v[118:119], v[118:119], -v[122:123]
	v_add_f64_e64 v[122:123], v[120:121], -v[128:129]
	;; [unrolled: 1-line block ×4, first 2 shown]
	v_add_f64_e32 v[126:127], v[140:141], v[134:135]
	v_add_f64_e32 v[128:129], v[146:147], v[150:151]
	;; [unrolled: 1-line block ×4, first 2 shown]
	v_add_f64_e64 v[134:135], v[140:141], -v[134:135]
	v_add_f64_e64 v[138:139], v[142:143], -v[136:137]
	;; [unrolled: 1-line block ×4, first 2 shown]
	v_lshlrev_b32_e32 v142, 6, v170
	ds_store_b128 v171, v[94:97]
	ds_store_b128 v171, v[110:113] offset:2496
	ds_store_b128 v171, v[114:117] offset:4992
	;; [unrolled: 1-line block ×11, first 2 shown]
	v_sub_co_u32 v142, s0, v92, v142
	s_wait_alu 0xf1ff
	v_subrev_co_ci_u32_e64 v143, s0, 0, v93, s0
	global_wb scope:SCOPE_SE
	s_wait_dscnt 0x0
	s_barrier_signal -1
	s_barrier_wait -1
	global_inv scope:SCOPE_SE
	s_clause 0x5
	global_load_b128 v[92:95], v[142:143], off offset:14768
	global_load_b128 v[96:99], v[142:143], off offset:17264
	;; [unrolled: 1-line block ×6, first 2 shown]
	ds_load_b128 v[116:119], v171 offset:14976
	ds_load_b128 v[120:123], v171 offset:17472
	;; [unrolled: 1-line block ×6, first 2 shown]
	s_wait_loadcnt_dscnt 0x505
	v_mul_f64_e32 v[140:141], v[118:119], v[94:95]
	v_mul_f64_e32 v[142:143], v[116:117], v[94:95]
	s_wait_loadcnt_dscnt 0x404
	v_mul_f64_e32 v[144:145], v[122:123], v[98:99]
	v_mul_f64_e32 v[146:147], v[120:121], v[98:99]
	;; [unrolled: 3-line block ×6, first 2 shown]
	v_fma_f64 v[140:141], v[116:117], v[92:93], -v[140:141]
	v_fma_f64 v[142:143], v[118:119], v[92:93], v[142:143]
	v_fma_f64 v[144:145], v[120:121], v[96:97], -v[144:145]
	v_fma_f64 v[146:147], v[122:123], v[96:97], v[146:147]
	;; [unrolled: 2-line block ×6, first 2 shown]
	ds_load_b128 v[116:119], v171
	ds_load_b128 v[128:131], v171 offset:2496
	ds_load_b128 v[136:139], v171 offset:4992
	;; [unrolled: 1-line block ×5, first 2 shown]
	s_wait_dscnt 0x5
	v_add_f64_e64 v[120:121], v[116:117], -v[140:141]
	v_add_f64_e64 v[122:123], v[118:119], -v[142:143]
	s_wait_dscnt 0x4
	v_add_f64_e64 v[124:125], v[128:129], -v[144:145]
	v_add_f64_e64 v[126:127], v[130:131], -v[146:147]
	s_wait_dscnt 0x3
	v_add_f64_e64 v[148:149], v[136:137], -v[148:149]
	v_add_f64_e64 v[150:151], v[138:139], -v[150:151]
	s_wait_dscnt 0x2
	v_add_f64_e64 v[152:153], v[156:157], -v[152:153]
	v_add_f64_e64 v[154:155], v[158:159], -v[154:155]
	s_wait_dscnt 0x1
	v_add_f64_e64 v[140:141], v[165:166], -v[132:133]
	v_add_f64_e64 v[142:143], v[167:168], -v[134:135]
	s_wait_dscnt 0x0
	v_add_f64_e64 v[132:133], v[181:182], -v[160:161]
	v_add_f64_e64 v[134:135], v[183:184], -v[162:163]
	v_fma_f64 v[116:117], v[116:117], 2.0, -v[120:121]
	v_fma_f64 v[118:119], v[118:119], 2.0, -v[122:123]
	;; [unrolled: 1-line block ×12, first 2 shown]
	ds_store_b128 v171, v[120:123] offset:14976
	ds_store_b128 v171, v[124:127] offset:17472
	;; [unrolled: 1-line block ×6, first 2 shown]
	ds_store_b128 v171, v[116:119]
	ds_store_b128 v171, v[128:131] offset:2496
	ds_store_b128 v171, v[144:147] offset:4992
	;; [unrolled: 1-line block ×5, first 2 shown]
	global_wb scope:SCOPE_SE
	s_wait_dscnt 0x0
	s_barrier_signal -1
	s_barrier_wait -1
	global_inv scope:SCOPE_SE
	s_and_saveexec_b32 s2, vcc_lo
	s_cbranch_execz .LBB0_9
; %bb.8:
	global_load_b128 v[165:168], v255, s[8:9] offset:29952
	s_add_nc_u64 s[0:1], s[8:9], 0x7500
	s_clause 0x3
	global_load_b128 v[181:184], v255, s[0:1] offset:2304
	global_load_b128 v[185:188], v255, s[0:1] offset:4608
	;; [unrolled: 1-line block ×4, first 2 shown]
	ds_load_b128 v[197:200], v171
	global_load_b128 v[201:204], v255, s[0:1] offset:11520
	s_wait_loadcnt_dscnt 0x500
	v_mul_f64_e32 v[205:206], v[199:200], v[167:168]
	v_mul_f64_e32 v[167:168], v[197:198], v[167:168]
	s_delay_alu instid0(VALU_DEP_2) | instskip(NEXT) | instid1(VALU_DEP_2)
	v_fma_f64 v[197:198], v[197:198], v[165:166], -v[205:206]
	v_fma_f64 v[199:200], v[199:200], v[165:166], v[167:168]
	global_load_b128 v[165:168], v255, s[0:1] offset:13824
	ds_store_b128 v171, v[197:200]
	ds_load_b128 v[197:200], v173 offset:2304
	s_wait_loadcnt_dscnt 0x500
	v_mul_f64_e32 v[205:206], v[199:200], v[183:184]
	v_mul_f64_e32 v[183:184], v[197:198], v[183:184]
	s_delay_alu instid0(VALU_DEP_2) | instskip(NEXT) | instid1(VALU_DEP_2)
	v_fma_f64 v[197:198], v[197:198], v[181:182], -v[205:206]
	v_fma_f64 v[199:200], v[199:200], v[181:182], v[183:184]
	ds_load_b128 v[181:184], v173 offset:4608
	s_wait_loadcnt_dscnt 0x400
	v_mul_f64_e32 v[205:206], v[183:184], v[187:188]
	v_mul_f64_e32 v[187:188], v[181:182], v[187:188]
	s_delay_alu instid0(VALU_DEP_2) | instskip(NEXT) | instid1(VALU_DEP_2)
	v_fma_f64 v[181:182], v[181:182], v[185:186], -v[205:206]
	v_fma_f64 v[183:184], v[183:184], v[185:186], v[187:188]
	ds_load_b128 v[185:188], v173 offset:6912
	s_wait_loadcnt_dscnt 0x300
	v_mul_f64_e32 v[205:206], v[187:188], v[191:192]
	v_mul_f64_e32 v[191:192], v[185:186], v[191:192]
	s_delay_alu instid0(VALU_DEP_2) | instskip(NEXT) | instid1(VALU_DEP_2)
	v_fma_f64 v[185:186], v[185:186], v[189:190], -v[205:206]
	v_fma_f64 v[187:188], v[187:188], v[189:190], v[191:192]
	ds_load_b128 v[189:192], v173 offset:9216
	s_wait_loadcnt_dscnt 0x200
	v_mul_f64_e32 v[205:206], v[191:192], v[195:196]
	v_mul_f64_e32 v[195:196], v[189:190], v[195:196]
	s_delay_alu instid0(VALU_DEP_2) | instskip(NEXT) | instid1(VALU_DEP_2)
	v_fma_f64 v[189:190], v[189:190], v[193:194], -v[205:206]
	v_fma_f64 v[191:192], v[191:192], v[193:194], v[195:196]
	ds_load_b128 v[193:196], v173 offset:11520
	s_wait_loadcnt_dscnt 0x100
	v_mul_f64_e32 v[205:206], v[195:196], v[203:204]
	v_mul_f64_e32 v[203:204], v[193:194], v[203:204]
	s_delay_alu instid0(VALU_DEP_2) | instskip(NEXT) | instid1(VALU_DEP_2)
	v_fma_f64 v[193:194], v[193:194], v[201:202], -v[205:206]
	v_fma_f64 v[195:196], v[195:196], v[201:202], v[203:204]
	ds_load_b128 v[201:204], v173 offset:13824
	s_wait_loadcnt_dscnt 0x0
	v_mul_f64_e32 v[205:206], v[203:204], v[167:168]
	v_mul_f64_e32 v[167:168], v[201:202], v[167:168]
	s_delay_alu instid0(VALU_DEP_2) | instskip(NEXT) | instid1(VALU_DEP_2)
	v_fma_f64 v[201:202], v[201:202], v[165:166], -v[205:206]
	v_fma_f64 v[203:204], v[203:204], v[165:166], v[167:168]
	global_load_b128 v[165:168], v255, s[0:1] offset:16128
	ds_load_b128 v[205:208], v173 offset:16128
	s_wait_loadcnt_dscnt 0x0
	v_mul_f64_e32 v[209:210], v[207:208], v[167:168]
	v_mul_f64_e32 v[167:168], v[205:206], v[167:168]
	s_delay_alu instid0(VALU_DEP_2) | instskip(NEXT) | instid1(VALU_DEP_2)
	v_fma_f64 v[205:206], v[205:206], v[165:166], -v[209:210]
	v_fma_f64 v[207:208], v[207:208], v[165:166], v[167:168]
	global_load_b128 v[165:168], v255, s[0:1] offset:18432
	ds_load_b128 v[209:212], v173 offset:18432
	s_wait_loadcnt_dscnt 0x0
	v_mul_f64_e32 v[213:214], v[211:212], v[167:168]
	v_mul_f64_e32 v[167:168], v[209:210], v[167:168]
	s_delay_alu instid0(VALU_DEP_2) | instskip(NEXT) | instid1(VALU_DEP_2)
	v_fma_f64 v[209:210], v[209:210], v[165:166], -v[213:214]
	v_fma_f64 v[211:212], v[211:212], v[165:166], v[167:168]
	;; [unrolled: 8-line block ×6, first 2 shown]
	ds_store_b128 v173, v[197:200] offset:2304
	ds_store_b128 v173, v[181:184] offset:4608
	;; [unrolled: 1-line block ×12, first 2 shown]
.LBB0_9:
	s_wait_alu 0xfffe
	s_or_b32 exec_lo, exec_lo, s2
	global_wb scope:SCOPE_SE
	s_wait_dscnt 0x0
	s_barrier_signal -1
	s_barrier_wait -1
	global_inv scope:SCOPE_SE
	s_and_saveexec_b32 s0, vcc_lo
	s_cbranch_execz .LBB0_11
; %bb.10:
	ds_load_b128 v[116:119], v171
	ds_load_b128 v[120:123], v171 offset:2304
	ds_load_b128 v[128:131], v171 offset:4608
	;; [unrolled: 1-line block ×12, first 2 shown]
.LBB0_11:
	s_wait_alu 0xfffe
	s_or_b32 exec_lo, exec_lo, s0
	global_wb scope:SCOPE_SE
	s_wait_dscnt 0x0
	s_barrier_signal -1
	s_barrier_wait -1
	global_inv scope:SCOPE_SE
	s_and_saveexec_b32 s33, vcc_lo
	s_cbranch_execz .LBB0_13
; %bb.12:
	v_add_f64_e32 v[165:166], v[118:119], v[122:123]
	v_add_f64_e32 v[167:168], v[116:117], v[120:121]
	v_add_f64_e64 v[193:194], v[144:145], -v[140:141]
	v_add_f64_e32 v[197:198], v[126:127], v[138:139]
	v_add_f64_e64 v[195:196], v[126:127], -v[138:139]
	;; [unrolled: 2-line block ×3, first 2 shown]
	v_add_f64_e32 v[207:208], v[132:133], v[128:129]
	s_mov_b32 s34, 0x42a4c3d2
	s_mov_b32 s35, 0x3fea55e2
	;; [unrolled: 1-line block ×3, first 2 shown]
	s_wait_alu 0xfffe
	s_mov_b32 s26, s34
	v_add_f64_e64 v[203:204], v[130:131], -v[134:135]
	v_add_f64_e32 v[205:206], v[134:135], v[130:131]
	s_mov_b32 s22, 0x1ea71119
	s_mov_b32 s23, 0x3fe22d96
	s_mov_b32 s37, 0x3fddbe06
	s_mov_b32 s36, 0x4267c47c
	s_mov_b32 s30, 0x66966769
	s_mov_b32 s10, 0x2ef20147
	s_mov_b32 s2, 0x24c2f84
	s_mov_b32 s0, 0x4bc48dbf
	s_mov_b32 s31, 0x3fefc445
	s_mov_b32 s11, 0xbfedeba7
	s_mov_b32 s3, 0xbfe5384d
	s_mov_b32 s1, 0xbfcea1e5
	s_mov_b32 s25, 0xbfefc445
	s_wait_alu 0xfffe
	s_mov_b32 s24, s30
	v_dual_mov_b32 v18, v239 :: v_dual_mov_b32 v19, v240
	v_dual_mov_b32 v20, v241 :: v_dual_mov_b32 v21, v242
	s_mov_b32 s20, 0xebaa3ed8
	s_mov_b32 s18, 0xb2365da1
	;; [unrolled: 1-line block ×6, first 2 shown]
	v_add_f64_e32 v[165:166], v[130:131], v[165:166]
	v_add_f64_e32 v[167:168], v[128:129], v[167:168]
	v_add_f64_e64 v[128:129], v[120:121], -v[0:1]
	v_add_f64_e64 v[130:131], v[122:123], -v[2:3]
	v_add_f64_e32 v[122:123], v[2:3], v[122:123]
	v_add_f64_e32 v[120:121], v[0:1], v[120:121]
	v_mul_f64_e32 v[185:186], s[36:37], v[193:194]
	s_mov_b32 s19, 0xbfd6b1d8
	s_mov_b32 s17, 0xbfe7f3cc
	;; [unrolled: 1-line block ×4, first 2 shown]
	v_dual_mov_b32 v10, v231 :: v_dual_mov_b32 v11, v232
	v_dual_mov_b32 v14, v235 :: v_dual_mov_b32 v15, v236
	;; [unrolled: 1-line block ×10, first 2 shown]
	s_mov_b32 s39, 0x3fe5384d
	s_mov_b32 s38, s2
	v_dual_mov_b32 v6, v174 :: v_dual_mov_b32 v7, v175
	v_dual_mov_b32 v8, v176 :: v_dual_mov_b32 v9, v177
	;; [unrolled: 1-line block ×3, first 2 shown]
	v_add_f64_e32 v[165:166], v[126:127], v[165:166]
	v_add_f64_e32 v[167:168], v[124:125], v[167:168]
	v_mul_f64_e32 v[209:210], s[26:27], v[128:129]
	v_mul_f64_e32 v[229:230], s[26:27], v[130:131]
	;; [unrolled: 1-line block ×4, first 2 shown]
	s_wait_alu 0xfffe
	v_mul_f64_e32 v[227:228], s[24:25], v[130:131]
	v_dual_mov_b32 v4, v169 :: v_dual_mov_b32 v5, v170
	v_add_f64_e32 v[165:166], v[146:147], v[165:166]
	v_add_f64_e32 v[167:168], v[144:145], v[167:168]
	;; [unrolled: 1-line block ×3, first 2 shown]
	v_fma_f64 v[219:220], v[122:123], s[22:23], v[209:210]
	v_fma_f64 v[239:240], v[120:121], s[22:23], -v[229:230]
	v_fma_f64 v[209:210], v[122:123], s[22:23], -v[209:210]
	;; [unrolled: 1-line block ×3, first 2 shown]
	v_fma_f64 v[223:224], v[120:121], s[16:17], v[223:224]
	v_fma_f64 v[235:236], v[120:121], s[18:19], -v[225:226]
	v_fma_f64 v[225:226], v[120:121], s[18:19], v[225:226]
	v_fma_f64 v[237:238], v[120:121], s[20:21], -v[227:228]
	v_fma_f64 v[227:228], v[120:121], s[20:21], v[227:228]
	v_fma_f64 v[229:230], v[120:121], s[22:23], v[229:230]
	v_add_f64_e32 v[165:166], v[150:151], v[165:166]
	v_add_f64_e32 v[167:168], v[148:149], v[167:168]
	;; [unrolled: 1-line block ×9, first 2 shown]
	v_add_f64_e64 v[167:168], v[160:161], -v[152:153]
	v_add_f64_e32 v[160:161], v[152:153], v[160:161]
	v_add_f64_e32 v[165:166], v[154:155], v[162:163]
	v_add_f64_e64 v[162:163], v[162:163], -v[154:155]
	v_add_f64_e32 v[181:182], v[154:155], v[181:182]
	v_add_f64_e32 v[183:184], v[152:153], v[183:184]
	;; [unrolled: 1-line block ×3, first 2 shown]
	v_add_f64_e64 v[150:151], v[150:151], -v[158:159]
	v_add_f64_e64 v[154:155], v[148:149], -v[156:157]
	v_add_f64_e32 v[148:149], v[156:157], v[148:149]
	v_mul_f64_e32 v[189:190], s[36:37], v[167:168]
	v_mul_f64_e32 v[191:192], s[36:37], v[162:163]
	;; [unrolled: 1-line block ×4, first 2 shown]
	v_add_f64_e32 v[158:159], v[158:159], v[181:182]
	v_add_f64_e32 v[181:182], v[156:157], v[183:184]
	;; [unrolled: 1-line block ×3, first 2 shown]
	v_add_f64_e64 v[146:147], v[146:147], -v[142:143]
	v_mul_f64_e32 v[183:184], s[36:37], v[195:196]
	v_add_f64_e32 v[142:143], v[142:143], v[158:159]
	v_add_f64_e32 v[140:141], v[140:141], v[181:182]
	v_add_f64_e64 v[158:159], v[124:125], -v[136:137]
	v_mul_f64_e32 v[187:188], s[36:37], v[146:147]
	s_delay_alu instid0(VALU_DEP_4) | instskip(NEXT) | instid1(VALU_DEP_4)
	v_add_f64_e32 v[124:125], v[138:139], v[142:143]
	v_add_f64_e32 v[126:127], v[136:137], v[140:141]
	s_delay_alu instid0(VALU_DEP_4)
	v_mul_f64_e32 v[181:182], s[36:37], v[158:159]
	v_mul_f64_e32 v[136:137], s[0:1], v[128:129]
	;; [unrolled: 1-line block ×5, first 2 shown]
	v_add_f64_e32 v[124:125], v[134:135], v[124:125]
	v_add_f64_e32 v[126:127], v[132:133], v[126:127]
	v_mul_f64_e32 v[132:133], s[36:37], v[154:155]
	v_mul_f64_e32 v[134:135], s[36:37], v[150:151]
	v_fma_f64 v[211:212], v[122:123], s[14:15], v[136:137]
	v_fma_f64 v[136:137], v[122:123], s[14:15], -v[136:137]
	v_fma_f64 v[213:214], v[122:123], s[16:17], v[138:139]
	v_fma_f64 v[138:139], v[122:123], s[16:17], -v[138:139]
	;; [unrolled: 2-line block ×4, first 2 shown]
	v_add_f64_e32 v[2:3], v[2:3], v[124:125]
	v_add_f64_e32 v[0:1], v[0:1], v[126:127]
	v_mul_f64_e32 v[124:125], s[36:37], v[201:202]
	v_mul_f64_e32 v[126:127], s[36:37], v[203:204]
	s_mov_b32 s37, 0xbfddbe06
	v_add_f64_e32 v[136:137], v[118:119], v[136:137]
	s_wait_alu 0xfffe
	v_mul_f64_e32 v[128:129], s[36:37], v[128:129]
	v_add_f64_e32 v[213:214], v[118:119], v[213:214]
	v_add_f64_e32 v[138:139], v[118:119], v[138:139]
	;; [unrolled: 1-line block ×4, first 2 shown]
	scratch_store_b128 off, v[0:3], off offset:28 ; 16-byte Folded Spill
	v_add_f64_e32 v[0:1], v[118:119], v[219:220]
	v_fma_f64 v[221:222], v[122:123], s[28:29], v[128:129]
	v_fma_f64 v[122:123], v[122:123], s[28:29], -v[128:129]
	v_mul_f64_e32 v[128:129], s[0:1], v[130:131]
	v_mul_f64_e32 v[130:131], s[36:37], v[130:131]
	s_mov_b32 s37, 0x3fcea1e5
	s_mov_b32 s36, s0
	scratch_store_b64 off, v[0:1], off offset:84 ; 8-byte Folded Spill
	v_add_f64_e32 v[0:1], v[116:117], v[239:240]
	v_fma_f64 v[231:232], v[120:121], s[14:15], -v[128:129]
	v_fma_f64 v[241:242], v[120:121], s[28:29], -v[130:131]
	v_fma_f64 v[128:129], v[120:121], s[14:15], v[128:129]
	v_fma_f64 v[120:121], v[120:121], s[28:29], v[130:131]
	v_add_f64_e32 v[130:131], v[118:119], v[211:212]
	scratch_store_b64 off, v[0:1], off offset:76 ; 8-byte Folded Spill
	v_add_f64_e32 v[0:1], v[118:119], v[221:222]
	v_add_f64_e32 v[211:212], v[116:117], v[231:232]
	;; [unrolled: 1-line block ×8, first 2 shown]
	scratch_store_b64 off, v[0:1], off offset:52 ; 8-byte Folded Spill
	v_add_f64_e32 v[0:1], v[116:117], v[241:242]
	scratch_store_b64 off, v[0:1], off offset:44 ; 8-byte Folded Spill
	v_add_f64_e32 v[0:1], v[118:119], v[122:123]
	v_fma_f64 v[118:119], v[207:208], s[28:29], -v[126:127]
	v_fma_f64 v[126:127], v[207:208], s[28:29], v[126:127]
	scratch_store_b64 off, v[0:1], off offset:68 ; 8-byte Folded Spill
	v_add_f64_e32 v[0:1], v[116:117], v[120:121]
	v_fma_f64 v[116:117], v[205:206], s[28:29], v[124:125]
	v_mul_f64_e32 v[120:121], s[2:3], v[158:159]
	v_add_f64_e32 v[118:119], v[118:119], v[211:212]
	v_fma_f64 v[124:125], v[205:206], s[28:29], -v[124:125]
	v_add_f64_e32 v[126:127], v[126:127], v[128:129]
	v_mul_f64_e32 v[128:129], s[30:31], v[201:202]
	scratch_store_b64 off, v[0:1], off offset:60 ; 8-byte Folded Spill
	v_add_f64_e32 v[116:117], v[116:117], v[130:131]
	v_fma_f64 v[122:123], v[197:198], s[16:17], v[120:121]
	v_fma_f64 v[120:121], v[197:198], s[16:17], -v[120:121]
	v_add_f64_e32 v[124:125], v[124:125], v[136:137]
	v_mul_f64_e32 v[136:137], s[26:27], v[158:159]
	v_mul_f64_e32 v[0:1], s[2:3], v[167:168]
	v_add_f64_e32 v[116:117], v[122:123], v[116:117]
	v_mul_f64_e32 v[122:123], s[2:3], v[195:196]
	v_add_f64_e32 v[120:121], v[120:121], v[124:125]
	s_delay_alu instid0(VALU_DEP_4) | instskip(SKIP_1) | instid1(VALU_DEP_4)
	v_fma_f64 v[2:3], v[165:166], s[16:17], -v[0:1]
	v_fma_f64 v[0:1], v[165:166], s[16:17], v[0:1]
	v_fma_f64 v[130:131], v[199:200], s[16:17], -v[122:123]
	v_fma_f64 v[122:123], v[199:200], s[16:17], v[122:123]
	s_delay_alu instid0(VALU_DEP_2) | instskip(SKIP_1) | instid1(VALU_DEP_3)
	v_add_f64_e32 v[118:119], v[130:131], v[118:119]
	v_mul_f64_e32 v[130:131], s[34:35], v[193:194]
	v_add_f64_e32 v[122:123], v[122:123], v[126:127]
	v_fma_f64 v[126:127], v[160:161], s[20:21], v[253:254]
	s_delay_alu instid0(VALU_DEP_3) | instskip(SKIP_2) | instid1(VALU_DEP_3)
	v_fma_f64 v[211:212], v[156:157], s[22:23], v[130:131]
	v_fma_f64 v[124:125], v[156:157], s[22:23], -v[130:131]
	v_mul_f64_e32 v[130:131], s[30:31], v[203:204]
	v_add_f64_e32 v[116:117], v[211:212], v[116:117]
	v_mul_f64_e32 v[211:212], s[34:35], v[146:147]
	s_delay_alu instid0(VALU_DEP_4) | instskip(NEXT) | instid1(VALU_DEP_2)
	v_add_f64_e32 v[120:121], v[124:125], v[120:121]
	v_fma_f64 v[245:246], v[144:145], s[22:23], -v[211:212]
	v_fma_f64 v[124:125], v[144:145], s[22:23], v[211:212]
	v_fma_f64 v[211:212], v[197:198], s[22:23], v[136:137]
	v_fma_f64 v[136:137], v[197:198], s[22:23], -v[136:137]
	s_delay_alu instid0(VALU_DEP_4) | instskip(SKIP_2) | instid1(VALU_DEP_2)
	v_add_f64_e32 v[118:119], v[245:246], v[118:119]
	v_mul_f64_e32 v[245:246], s[10:11], v[154:155]
	v_add_f64_e32 v[122:123], v[124:125], v[122:123]
	v_fma_f64 v[247:248], v[152:153], s[18:19], v[245:246]
	v_fma_f64 v[124:125], v[152:153], s[18:19], -v[245:246]
	s_delay_alu instid0(VALU_DEP_2) | instskip(SKIP_1) | instid1(VALU_DEP_3)
	v_add_f64_e32 v[116:117], v[247:248], v[116:117]
	v_mul_f64_e32 v[247:248], s[10:11], v[150:151]
	v_add_f64_e32 v[120:121], v[124:125], v[120:121]
	s_delay_alu instid0(VALU_DEP_2) | instskip(SKIP_2) | instid1(VALU_DEP_3)
	v_fma_f64 v[124:125], v[148:149], s[18:19], v[247:248]
	v_fma_f64 v[249:250], v[148:149], s[18:19], -v[247:248]
	v_mul_f64_e32 v[247:248], s[10:11], v[167:168]
	v_add_f64_e32 v[124:125], v[124:125], v[122:123]
	v_fma_f64 v[122:123], v[165:166], s[20:21], -v[251:252]
	s_delay_alu instid0(VALU_DEP_4) | instskip(SKIP_1) | instid1(VALU_DEP_3)
	v_add_f64_e32 v[249:250], v[249:250], v[118:119]
	v_fma_f64 v[118:119], v[165:166], s[20:21], v[251:252]
	v_add_f64_e32 v[122:123], v[122:123], v[120:121]
	v_add_f64_e32 v[120:121], v[126:127], v[124:125]
	v_fma_f64 v[124:125], v[205:206], s[20:21], v[128:129]
	v_fma_f64 v[126:127], v[207:208], s[20:21], -v[130:131]
	v_fma_f64 v[128:129], v[205:206], s[20:21], -v[128:129]
	v_fma_f64 v[130:131], v[207:208], s[20:21], v[130:131]
	v_add_f64_e32 v[118:119], v[118:119], v[116:117]
	v_fma_f64 v[116:117], v[160:161], s[20:21], -v[253:254]
	v_add_f64_e32 v[124:125], v[124:125], v[213:214]
	v_add_f64_e32 v[126:127], v[126:127], v[231:232]
	;; [unrolled: 1-line block ×4, first 2 shown]
	v_mul_f64_e32 v[223:224], s[24:25], v[146:147]
	v_add_f64_e32 v[116:117], v[116:117], v[249:250]
	v_mul_f64_e32 v[249:250], s[10:11], v[162:163]
	v_add_f64_e32 v[124:125], v[211:212], v[124:125]
	;; [unrolled: 2-line block ×3, first 2 shown]
	s_delay_alu instid0(VALU_DEP_2) | instskip(SKIP_2) | instid1(VALU_DEP_3)
	v_fma_f64 v[213:214], v[199:200], s[22:23], -v[211:212]
	v_fma_f64 v[136:137], v[199:200], s[22:23], v[211:212]
	v_mul_f64_e32 v[211:212], s[38:39], v[201:202]
	v_add_f64_e32 v[126:127], v[213:214], v[126:127]
	s_wait_alu 0xfffe
	v_mul_f64_e32 v[213:214], s[36:37], v[193:194]
	s_delay_alu instid0(VALU_DEP_4) | instskip(NEXT) | instid1(VALU_DEP_2)
	v_add_f64_e32 v[130:131], v[136:137], v[130:131]
	v_fma_f64 v[231:232], v[156:157], s[14:15], v[213:214]
	v_fma_f64 v[136:137], v[156:157], s[14:15], -v[213:214]
	v_mul_f64_e32 v[213:214], s[38:39], v[203:204]
	s_delay_alu instid0(VALU_DEP_3) | instskip(SKIP_1) | instid1(VALU_DEP_4)
	v_add_f64_e32 v[124:125], v[231:232], v[124:125]
	v_mul_f64_e32 v[231:232], s[36:37], v[146:147]
	v_add_f64_e32 v[128:129], v[136:137], v[128:129]
	s_delay_alu instid0(VALU_DEP_2) | instskip(SKIP_2) | instid1(VALU_DEP_3)
	v_fma_f64 v[245:246], v[144:145], s[14:15], -v[231:232]
	v_fma_f64 v[136:137], v[144:145], s[14:15], v[231:232]
	v_mul_f64_e32 v[231:232], s[36:37], v[154:155]
	v_add_f64_e32 v[126:127], v[245:246], v[126:127]
	v_fma_f64 v[245:246], v[152:153], s[28:29], v[132:133]
	v_fma_f64 v[132:133], v[152:153], s[28:29], -v[132:133]
	v_add_f64_e32 v[130:131], v[136:137], v[130:131]
	v_fma_f64 v[136:137], v[197:198], s[28:29], v[181:182]
	v_fma_f64 v[181:182], v[197:198], s[28:29], -v[181:182]
	v_add_f64_e32 v[124:125], v[245:246], v[124:125]
	v_add_f64_e32 v[128:129], v[132:133], v[128:129]
	v_fma_f64 v[132:133], v[148:149], s[28:29], v[134:135]
	v_fma_f64 v[245:246], v[148:149], s[28:29], -v[134:135]
	v_fma_f64 v[134:135], v[160:161], s[18:19], v[249:250]
	s_delay_alu instid0(VALU_DEP_3) | instskip(SKIP_1) | instid1(VALU_DEP_4)
	v_add_f64_e32 v[132:133], v[132:133], v[130:131]
	v_fma_f64 v[130:131], v[165:166], s[18:19], -v[247:248]
	v_add_f64_e32 v[245:246], v[245:246], v[126:127]
	v_fma_f64 v[126:127], v[165:166], s[18:19], v[247:248]
	v_mul_f64_e32 v[247:248], s[34:35], v[162:163]
	s_delay_alu instid0(VALU_DEP_4)
	v_add_f64_e32 v[130:131], v[130:131], v[128:129]
	v_add_f64_e32 v[128:129], v[134:135], v[132:133]
	v_fma_f64 v[132:133], v[205:206], s[16:17], v[211:212]
	v_fma_f64 v[134:135], v[207:208], s[16:17], -v[213:214]
	v_add_f64_e32 v[126:127], v[126:127], v[124:125]
	v_fma_f64 v[124:125], v[160:161], s[18:19], -v[249:250]
	v_mul_f64_e32 v[249:250], s[10:11], v[201:202]
	v_add_f64_e32 v[132:133], v[132:133], v[215:216]
	v_add_f64_e32 v[134:135], v[134:135], v[233:234]
	v_mul_f64_e32 v[215:216], s[24:25], v[193:194]
	v_mul_f64_e32 v[233:234], s[36:37], v[150:151]
	v_add_f64_e32 v[124:125], v[124:125], v[245:246]
	v_mul_f64_e32 v[245:246], s[34:35], v[167:168]
	v_mul_f64_e32 v[167:168], s[0:1], v[167:168]
	v_add_f64_e32 v[132:133], v[136:137], v[132:133]
	v_fma_f64 v[136:137], v[199:200], s[28:29], -v[183:184]
	s_delay_alu instid0(VALU_DEP_1) | instskip(SKIP_1) | instid1(VALU_DEP_1)
	v_add_f64_e32 v[134:135], v[136:137], v[134:135]
	v_fma_f64 v[136:137], v[156:157], s[20:21], v[215:216]
	v_add_f64_e32 v[132:133], v[136:137], v[132:133]
	v_fma_f64 v[136:137], v[144:145], s[20:21], -v[223:224]
	s_delay_alu instid0(VALU_DEP_1) | instskip(SKIP_1) | instid1(VALU_DEP_1)
	v_add_f64_e32 v[134:135], v[136:137], v[134:135]
	v_fma_f64 v[136:137], v[152:153], s[14:15], v[231:232]
	;; [unrolled: 5-line block ×3, first 2 shown]
	v_add_f64_e32 v[134:135], v[134:135], v[132:133]
	v_fma_f64 v[132:133], v[160:161], s[22:23], -v[247:248]
	s_delay_alu instid0(VALU_DEP_1) | instskip(SKIP_1) | instid1(VALU_DEP_1)
	v_add_f64_e32 v[132:133], v[132:133], v[136:137]
	v_fma_f64 v[136:137], v[205:206], s[18:19], -v[249:250]
	v_add_f64_e32 v[136:137], v[136:137], v[209:210]
	v_mul_f64_e32 v[209:210], s[10:11], v[203:204]
	s_delay_alu instid0(VALU_DEP_1) | instskip(NEXT) | instid1(VALU_DEP_1)
	v_fma_f64 v[138:139], v[207:208], s[18:19], v[209:210]
	v_add_f64_e32 v[138:139], v[138:139], v[229:230]
	v_mul_f64_e32 v[229:230], s[0:1], v[158:159]
	s_delay_alu instid0(VALU_DEP_1) | instskip(NEXT) | instid1(VALU_DEP_1)
	v_fma_f64 v[251:252], v[197:198], s[14:15], -v[229:230]
	v_add_f64_e32 v[136:137], v[251:252], v[136:137]
	v_mul_f64_e32 v[251:252], s[0:1], v[195:196]
	s_delay_alu instid0(VALU_DEP_1) | instskip(NEXT) | instid1(VALU_DEP_1)
	v_fma_f64 v[253:254], v[199:200], s[14:15], v[251:252]
	v_add_f64_e32 v[138:139], v[253:254], v[138:139]
	v_mul_f64_e32 v[253:254], s[38:39], v[193:194]
	s_delay_alu instid0(VALU_DEP_1) | instskip(NEXT) | instid1(VALU_DEP_1)
	v_fma_f64 v[174:175], v[156:157], s[16:17], -v[253:254]
	v_add_f64_e32 v[136:137], v[174:175], v[136:137]
	v_mul_f64_e32 v[174:175], s[38:39], v[146:147]
	v_mul_f64_e32 v[146:147], s[10:11], v[146:147]
	s_delay_alu instid0(VALU_DEP_2) | instskip(NEXT) | instid1(VALU_DEP_1)
	v_fma_f64 v[176:177], v[144:145], s[16:17], v[174:175]
	v_add_f64_e32 v[138:139], v[176:177], v[138:139]
	v_mul_f64_e32 v[176:177], s[30:31], v[154:155]
	s_delay_alu instid0(VALU_DEP_1) | instskip(NEXT) | instid1(VALU_DEP_1)
	v_fma_f64 v[178:179], v[152:153], s[20:21], -v[176:177]
	v_add_f64_e32 v[136:137], v[178:179], v[136:137]
	v_mul_f64_e32 v[178:179], s[30:31], v[150:151]
	s_mov_b32 s31, 0x3fedeba7
	s_mov_b32 s30, s10
	s_delay_alu instid0(VALU_DEP_1) | instskip(NEXT) | instid1(VALU_DEP_1)
	v_fma_f64 v[239:240], v[148:149], s[20:21], v[178:179]
	v_add_f64_e32 v[239:240], v[239:240], v[138:139]
	v_fma_f64 v[138:139], v[165:166], s[28:29], -v[189:190]
	s_delay_alu instid0(VALU_DEP_1) | instskip(SKIP_1) | instid1(VALU_DEP_1)
	v_add_f64_e32 v[138:139], v[138:139], v[136:137]
	v_fma_f64 v[136:137], v[160:161], s[28:29], v[191:192]
	v_add_f64_e32 v[136:137], v[136:137], v[239:240]
	v_mul_f64_e32 v[239:240], s[0:1], v[201:202]
	s_delay_alu instid0(VALU_DEP_1) | instskip(NEXT) | instid1(VALU_DEP_1)
	v_fma_f64 v[221:222], v[205:206], s[14:15], -v[239:240]
	v_add_f64_e32 v[140:141], v[221:222], v[140:141]
	v_mul_f64_e32 v[221:222], s[0:1], v[203:204]
	s_delay_alu instid0(VALU_DEP_1) | instskip(NEXT) | instid1(VALU_DEP_1)
	v_fma_f64 v[243:244], v[207:208], s[14:15], v[221:222]
	v_add_f64_e32 v[142:143], v[243:244], v[142:143]
	s_wait_alu 0xfffe
	v_mul_f64_e32 v[243:244], s[30:31], v[158:159]
	v_mul_f64_e32 v[158:159], s[24:25], v[158:159]
	s_delay_alu instid0(VALU_DEP_2) | instskip(NEXT) | instid1(VALU_DEP_1)
	v_fma_f64 v[241:242], v[197:198], s[18:19], -v[243:244]
	v_add_f64_e32 v[140:141], v[241:242], v[140:141]
	v_mul_f64_e32 v[241:242], s[30:31], v[195:196]
	s_delay_alu instid0(VALU_DEP_1) | instskip(NEXT) | instid1(VALU_DEP_1)
	v_fma_f64 v[227:228], v[199:200], s[18:19], v[241:242]
	v_add_f64_e32 v[142:143], v[227:228], v[142:143]
	v_fma_f64 v[227:228], v[156:157], s[28:29], -v[185:186]
	v_fma_f64 v[185:186], v[156:157], s[28:29], v[185:186]
	s_delay_alu instid0(VALU_DEP_2) | instskip(SKIP_1) | instid1(VALU_DEP_1)
	v_add_f64_e32 v[140:141], v[227:228], v[140:141]
	v_fma_f64 v[227:228], v[144:145], s[28:29], v[187:188]
	v_add_f64_e32 v[142:143], v[227:228], v[142:143]
	v_mul_f64_e32 v[227:228], s[26:27], v[154:155]
	v_mul_f64_e32 v[154:155], s[2:3], v[154:155]
	s_delay_alu instid0(VALU_DEP_2) | instskip(NEXT) | instid1(VALU_DEP_1)
	v_fma_f64 v[219:220], v[152:153], s[22:23], -v[227:228]
	v_add_f64_e32 v[140:141], v[219:220], v[140:141]
	v_mul_f64_e32 v[219:220], s[26:27], v[150:151]
	v_mul_f64_e32 v[150:151], s[2:3], v[150:151]
	s_delay_alu instid0(VALU_DEP_2) | instskip(NEXT) | instid1(VALU_DEP_1)
	v_fma_f64 v[169:170], v[148:149], s[22:23], v[219:220]
	v_add_f64_e32 v[169:170], v[169:170], v[142:143]
	v_add_f64_e32 v[142:143], v[2:3], v[140:141]
	v_mul_f64_e32 v[2:3], s[2:3], v[162:163]
	v_mul_f64_e32 v[162:163], s[0:1], v[162:163]
	s_delay_alu instid0(VALU_DEP_2) | instskip(SKIP_1) | instid1(VALU_DEP_2)
	v_fma_f64 v[140:141], v[160:161], s[16:17], v[2:3]
	v_fma_f64 v[2:3], v[160:161], s[16:17], -v[2:3]
	v_add_f64_e32 v[140:141], v[140:141], v[169:170]
	v_fma_f64 v[169:170], v[205:206], s[16:17], -v[211:212]
	v_fma_f64 v[211:212], v[207:208], s[16:17], v[213:214]
	v_fma_f64 v[213:214], v[197:198], s[18:19], v[243:244]
	s_delay_alu instid0(VALU_DEP_3) | instskip(NEXT) | instid1(VALU_DEP_3)
	v_add_f64_e32 v[169:170], v[169:170], v[235:236]
	v_add_f64_e32 v[211:212], v[211:212], v[225:226]
	s_delay_alu instid0(VALU_DEP_2) | instskip(SKIP_2) | instid1(VALU_DEP_2)
	v_add_f64_e32 v[169:170], v[181:182], v[169:170]
	v_fma_f64 v[181:182], v[199:200], s[28:29], v[183:184]
	v_fma_f64 v[183:184], v[156:157], s[20:21], -v[215:216]
	v_add_f64_e32 v[181:182], v[181:182], v[211:212]
	s_delay_alu instid0(VALU_DEP_2) | instskip(SKIP_2) | instid1(VALU_DEP_2)
	v_add_f64_e32 v[169:170], v[183:184], v[169:170]
	v_fma_f64 v[183:184], v[144:145], s[20:21], v[223:224]
	v_fma_f64 v[211:212], v[160:161], s[22:23], v[247:248]
	v_add_f64_e32 v[181:182], v[183:184], v[181:182]
	v_fma_f64 v[183:184], v[152:153], s[14:15], -v[231:232]
	s_delay_alu instid0(VALU_DEP_1)
	v_add_f64_e32 v[169:170], v[183:184], v[169:170]
	v_fma_f64 v[183:184], v[148:149], s[14:15], v[233:234]
	v_dual_mov_b32 v234, v13 :: v_dual_mov_b32 v233, v12
	v_dual_mov_b32 v232, v11 :: v_dual_mov_b32 v231, v10
	scratch_load_b64 v[10:11], off, off offset:76 th:TH_LOAD_LU ; 8-byte Folded Reload
	v_add_f64_e32 v[181:182], v[183:184], v[181:182]
	v_fma_f64 v[183:184], v[165:166], s[22:23], -v[245:246]
	v_dual_mov_b32 v246, v25 :: v_dual_mov_b32 v245, v24
	v_dual_mov_b32 v244, v23 :: v_dual_mov_b32 v243, v22
	s_delay_alu instid0(VALU_DEP_4) | instskip(NEXT) | instid1(VALU_DEP_4)
	v_add_f64_e32 v[181:182], v[211:212], v[181:182]
	v_add_f64_e32 v[183:184], v[183:184], v[169:170]
	v_fma_f64 v[169:170], v[205:206], s[14:15], v[239:240]
	v_fma_f64 v[211:212], v[207:208], s[14:15], -v[221:222]
	s_delay_alu instid0(VALU_DEP_2) | instskip(NEXT) | instid1(VALU_DEP_2)
	v_add_f64_e32 v[169:170], v[169:170], v[217:218]
	v_add_f64_e32 v[211:212], v[211:212], v[237:238]
	v_dual_mov_b32 v238, v17 :: v_dual_mov_b32 v237, v16
	v_dual_mov_b32 v236, v15 :: v_dual_mov_b32 v235, v14
	s_delay_alu instid0(VALU_DEP_4) | instskip(SKIP_3) | instid1(VALU_DEP_4)
	v_add_f64_e32 v[169:170], v[213:214], v[169:170]
	v_fma_f64 v[213:214], v[199:200], s[18:19], -v[241:242]
	v_dual_mov_b32 v242, v21 :: v_dual_mov_b32 v241, v20
	v_dual_mov_b32 v240, v19 :: v_dual_mov_b32 v239, v18
	v_add_f64_e32 v[169:170], v[185:186], v[169:170]
	s_delay_alu instid0(VALU_DEP_4) | instskip(SKIP_2) | instid1(VALU_DEP_2)
	v_add_f64_e32 v[211:212], v[213:214], v[211:212]
	v_fma_f64 v[185:186], v[144:145], s[28:29], -v[187:188]
	v_fma_f64 v[187:188], v[152:153], s[22:23], v[227:228]
	v_add_f64_e32 v[185:186], v[185:186], v[211:212]
	s_delay_alu instid0(VALU_DEP_2) | instskip(SKIP_1) | instid1(VALU_DEP_1)
	v_add_f64_e32 v[169:170], v[187:188], v[169:170]
	v_fma_f64 v[187:188], v[148:149], s[22:23], -v[219:220]
	v_add_f64_e32 v[185:186], v[187:188], v[185:186]
	s_delay_alu instid0(VALU_DEP_3)
	v_add_f64_e32 v[187:188], v[0:1], v[169:170]
	v_fma_f64 v[0:1], v[205:206], s[18:19], v[249:250]
	v_fma_f64 v[169:170], v[197:198], s[14:15], v[229:230]
	v_dual_mov_b32 v250, v29 :: v_dual_mov_b32 v249, v28
	v_dual_mov_b32 v248, v27 :: v_dual_mov_b32 v247, v26
	v_add_f64_e32 v[185:186], v[2:3], v[185:186]
	scratch_load_b64 v[2:3], off, off offset:84 th:TH_LOAD_LU ; 8-byte Folded Reload
	s_wait_loadcnt 0x0
	v_add_f64_e32 v[0:1], v[0:1], v[2:3]
	v_fma_f64 v[2:3], v[207:208], s[18:19], -v[209:210]
	s_delay_alu instid0(VALU_DEP_2) | instskip(NEXT) | instid1(VALU_DEP_2)
	v_add_f64_e32 v[0:1], v[169:170], v[0:1]
	v_add_f64_e32 v[2:3], v[2:3], v[10:11]
	scratch_load_b64 v[10:11], off, off offset:68 th:TH_LOAD_LU ; 8-byte Folded Reload
	v_fma_f64 v[169:170], v[199:200], s[14:15], -v[251:252]
	s_delay_alu instid0(VALU_DEP_1) | instskip(SKIP_3) | instid1(VALU_DEP_3)
	v_add_f64_e32 v[2:3], v[169:170], v[2:3]
	v_fma_f64 v[169:170], v[156:157], s[16:17], v[253:254]
	v_dual_mov_b32 v254, v33 :: v_dual_mov_b32 v253, v32
	v_dual_mov_b32 v252, v31 :: v_dual_mov_b32 v251, v30
	v_add_f64_e32 v[0:1], v[169:170], v[0:1]
	v_fma_f64 v[169:170], v[144:145], s[16:17], -v[174:175]
	v_fma_f64 v[174:175], v[160:161], s[28:29], -v[191:192]
	s_delay_alu instid0(VALU_DEP_2) | instskip(SKIP_3) | instid1(VALU_DEP_3)
	v_add_f64_e32 v[2:3], v[169:170], v[2:3]
	v_fma_f64 v[169:170], v[152:153], s[20:21], v[176:177]
	v_fma_f64 v[176:177], v[197:198], s[20:21], -v[158:159]
	v_fma_f64 v[158:159], v[197:198], s[20:21], v[158:159]
	v_add_f64_e32 v[0:1], v[169:170], v[0:1]
	v_fma_f64 v[169:170], v[148:149], s[20:21], -v[178:179]
	s_delay_alu instid0(VALU_DEP_1) | instskip(SKIP_1) | instid1(VALU_DEP_2)
	v_add_f64_e32 v[2:3], v[169:170], v[2:3]
	v_fma_f64 v[169:170], v[165:166], s[28:29], v[189:190]
	v_add_f64_e32 v[189:190], v[174:175], v[2:3]
	s_delay_alu instid0(VALU_DEP_2) | instskip(SKIP_2) | instid1(VALU_DEP_2)
	v_add_f64_e32 v[191:192], v[169:170], v[0:1]
	v_mul_f64_e32 v[0:1], s[26:27], v[201:202]
	v_mul_f64_e32 v[169:170], s[26:27], v[203:204]
	v_fma_f64 v[2:3], v[205:206], s[22:23], -v[0:1]
	s_delay_alu instid0(VALU_DEP_2) | instskip(SKIP_2) | instid1(VALU_DEP_3)
	v_fma_f64 v[174:175], v[207:208], s[22:23], v[169:170]
	v_fma_f64 v[0:1], v[205:206], s[22:23], v[0:1]
	s_wait_loadcnt 0x0
	v_add_f64_e32 v[2:3], v[2:3], v[10:11]
	scratch_load_b64 v[10:11], off, off offset:60 th:TH_LOAD_LU ; 8-byte Folded Reload
	v_add_f64_e32 v[2:3], v[176:177], v[2:3]
	v_mul_f64_e32 v[176:177], s[24:25], v[195:196]
	s_delay_alu instid0(VALU_DEP_1)
	v_fma_f64 v[178:179], v[199:200], s[20:21], v[176:177]
	s_wait_loadcnt 0x0
	v_add_f64_e32 v[174:175], v[174:175], v[10:11]
	scratch_load_b64 v[10:11], off, off offset:52 th:TH_LOAD_LU ; 8-byte Folded Reload
	v_add_f64_e32 v[174:175], v[178:179], v[174:175]
	v_mul_f64_e32 v[178:179], s[10:11], v[193:194]
	s_delay_alu instid0(VALU_DEP_1) | instskip(SKIP_2) | instid1(VALU_DEP_3)
	v_fma_f64 v[193:194], v[156:157], s[18:19], -v[178:179]
	v_fma_f64 v[156:157], v[156:157], s[18:19], v[178:179]
	v_dual_mov_b32 v179, v35 :: v_dual_mov_b32 v178, v34
	v_add_f64_e32 v[2:3], v[193:194], v[2:3]
	v_fma_f64 v[193:194], v[144:145], s[18:19], v[146:147]
	v_fma_f64 v[144:145], v[144:145], s[18:19], -v[146:147]
	v_fma_f64 v[146:147], v[152:153], s[16:17], v[154:155]
	s_delay_alu instid0(VALU_DEP_3) | instskip(SKIP_1) | instid1(VALU_DEP_1)
	v_add_f64_e32 v[174:175], v[193:194], v[174:175]
	v_fma_f64 v[193:194], v[152:153], s[16:17], -v[154:155]
	v_add_f64_e32 v[2:3], v[193:194], v[2:3]
	v_fma_f64 v[193:194], v[148:149], s[16:17], v[150:151]
	v_fma_f64 v[148:149], v[148:149], s[16:17], -v[150:151]
	v_fma_f64 v[150:151], v[160:161], s[14:15], -v[162:163]
	s_delay_alu instid0(VALU_DEP_3) | instskip(SKIP_1) | instid1(VALU_DEP_1)
	v_add_f64_e32 v[174:175], v[193:194], v[174:175]
	v_fma_f64 v[193:194], v[165:166], s[14:15], -v[167:168]
	v_add_f64_e32 v[195:196], v[193:194], v[2:3]
	v_fma_f64 v[2:3], v[160:161], s[14:15], v[162:163]
	s_delay_alu instid0(VALU_DEP_1)
	v_add_f64_e32 v[193:194], v[2:3], v[174:175]
	v_fma_f64 v[2:3], v[207:208], s[22:23], -v[169:170]
	v_fma_f64 v[169:170], v[199:200], s[20:21], -v[176:177]
	v_dual_mov_b32 v177, v9 :: v_dual_mov_b32 v176, v8
	v_dual_mov_b32 v175, v7 :: v_dual_mov_b32 v174, v6
	scratch_load_b64 v[6:7], off, off offset:44 th:TH_LOAD_LU ; 8-byte Folded Reload
	s_wait_loadcnt 0x1
	v_add_f64_e32 v[0:1], v[0:1], v[10:11]
	s_delay_alu instid0(VALU_DEP_1) | instskip(NEXT) | instid1(VALU_DEP_1)
	v_add_f64_e32 v[0:1], v[158:159], v[0:1]
	v_add_f64_e32 v[0:1], v[156:157], v[0:1]
	s_delay_alu instid0(VALU_DEP_1) | instskip(SKIP_2) | instid1(VALU_DEP_1)
	v_add_f64_e32 v[0:1], v[146:147], v[0:1]
	s_wait_loadcnt 0x0
	v_add_f64_e32 v[2:3], v[2:3], v[6:7]
	v_add_f64_e32 v[2:3], v[169:170], v[2:3]
	v_dual_mov_b32 v170, v5 :: v_dual_mov_b32 v169, v4
	s_delay_alu instid0(VALU_DEP_2) | instskip(SKIP_1) | instid1(VALU_DEP_2)
	v_add_f64_e32 v[2:3], v[144:145], v[2:3]
	v_fma_f64 v[144:145], v[165:166], s[14:15], v[167:168]
	v_add_f64_e32 v[2:3], v[148:149], v[2:3]
	s_delay_alu instid0(VALU_DEP_2) | instskip(SKIP_4) | instid1(VALU_DEP_1)
	v_add_f64_e32 v[146:147], v[144:145], v[0:1]
	scratch_load_b32 v0, off, off offset:24 th:TH_LOAD_LU ; 4-byte Folded Reload
	v_add_f64_e32 v[144:145], v[150:151], v[2:3]
	s_wait_loadcnt 0x0
	v_and_b32_e32 v0, 0xffff, v0
	v_lshlrev_b32_e32 v0, 4, v0
	ds_store_b128 v0, v[136:139] offset:32
	ds_store_b128 v0, v[140:143] offset:48
	ds_store_b128 v0, v[181:184] offset:64
	ds_store_b128 v0, v[128:131] offset:80
	ds_store_b128 v0, v[120:123] offset:96
	ds_store_b128 v0, v[116:119] offset:112
	ds_store_b128 v0, v[124:127] offset:128
	ds_store_b128 v0, v[132:135] offset:144
	ds_store_b128 v0, v[185:188] offset:160
	ds_store_b128 v0, v[189:192] offset:176
	ds_store_b128 v0, v[193:196] offset:16
	scratch_load_b128 v[1:4], off, off offset:28 th:TH_LOAD_LU ; 16-byte Folded Reload
	s_wait_loadcnt 0x0
	ds_store_b128 v0, v[1:4]
	ds_store_b128 v0, v[144:147] offset:192
.LBB0_13:
	s_or_b32 exec_lo, exec_lo, s33
	global_wb scope:SCOPE_SE
	s_wait_storecnt_dscnt 0x0
	s_barrier_signal -1
	s_barrier_wait -1
	global_inv scope:SCOPE_SE
	ds_load_b128 v[0:3], v171 offset:9984
	ds_load_b128 v[116:119], v171 offset:19968
	;; [unrolled: 1-line block ×8, first 2 shown]
	scratch_load_b128 v[28:31], off, off th:TH_LOAD_LU ; 16-byte Folded Reload
	s_mov_b32 s2, 0xe8584caa
	s_mov_b32 s3, 0xbfebb67a
	;; [unrolled: 1-line block ×3, first 2 shown]
	s_wait_alu 0xfffe
	s_mov_b32 s0, s2
	s_wait_dscnt 0x7
	v_mul_f64_e32 v[144:145], v[245:246], v[2:3]
	v_mul_f64_e32 v[22:23], v[245:246], v[0:1]
	s_wait_dscnt 0x6
	v_mul_f64_e32 v[146:147], v[233:234], v[118:119]
	v_mul_f64_e32 v[10:11], v[233:234], v[116:117]
	;; [unrolled: 3-line block ×3, first 2 shown]
	s_wait_dscnt 0x4
	v_mul_f64_e32 v[14:15], v[237:238], v[124:125]
	s_wait_dscnt 0x3
	v_mul_f64_e32 v[152:153], v[241:242], v[130:131]
	v_mul_f64_e32 v[18:19], v[241:242], v[128:129]
	s_wait_dscnt 0x2
	v_mul_f64_e32 v[154:155], v[176:177], v[134:135]
	v_mul_f64_e32 v[150:151], v[237:238], v[126:127]
	;; [unrolled: 1-line block ×3, first 2 shown]
	s_wait_dscnt 0x0
	v_mul_f64_e32 v[158:159], v[253:254], v[142:143]
	v_fma_f64 v[144:145], v[243:244], v[0:1], v[144:145]
	v_fma_f64 v[20:21], v[243:244], v[2:3], -v[22:23]
	v_fma_f64 v[22:23], v[231:232], v[116:117], v[146:147]
	v_fma_f64 v[116:117], v[231:232], v[118:119], -v[10:11]
	;; [unrolled: 2-line block ×3, first 2 shown]
	v_fma_f64 v[120:121], v[235:236], v[126:127], -v[14:15]
	v_fma_f64 v[122:123], v[239:240], v[128:129], v[152:153]
	v_fma_f64 v[16:17], v[239:240], v[130:131], -v[18:19]
	v_fma_f64 v[18:19], v[174:175], v[132:133], v[154:155]
	ds_load_b128 v[0:3], v171
	v_fma_f64 v[26:27], v[235:236], v[124:125], v[150:151]
	v_fma_f64 v[124:125], v[174:175], v[134:135], -v[6:7]
	ds_load_b128 v[4:7], v171 offset:2496
	ds_load_b128 v[8:11], v171 offset:4992
	;; [unrolled: 1-line block ×3, first 2 shown]
	global_wb scope:SCOPE_SE
	s_wait_loadcnt_dscnt 0x0
	s_barrier_signal -1
	s_barrier_wait -1
	global_inv scope:SCOPE_SE
	v_add_f64_e32 v[128:129], v[20:21], v[116:117]
	v_add_f64_e64 v[146:147], v[20:21], -v[116:117]
	v_add_f64_e32 v[20:21], v[2:3], v[20:21]
	v_add_f64_e32 v[132:133], v[24:25], v[120:121]
	;; [unrolled: 1-line block ×5, first 2 shown]
	v_add_f64_e64 v[122:123], v[122:123], -v[18:19]
	v_add_f64_e32 v[130:131], v[118:119], v[26:27]
	v_add_f64_e64 v[162:163], v[16:17], -v[124:125]
	v_add_f64_e32 v[148:149], v[4:5], v[118:119]
	v_add_f64_e32 v[150:151], v[6:7], v[24:25]
	v_add_f64_e64 v[160:161], v[24:25], -v[120:121]
	v_add_f64_e64 v[118:119], v[118:119], -v[26:27]
	v_fma_f64 v[128:129], v[128:129], -0.5, v[2:3]
	v_add_f64_e32 v[2:3], v[20:21], v[116:117]
	v_fma_f64 v[132:133], v[132:133], -0.5, v[6:7]
	v_fma_f64 v[134:135], v[134:135], -0.5, v[8:9]
	v_add_f64_e32 v[8:9], v[152:153], v[18:19]
	v_fma_f64 v[130:131], v[130:131], -0.5, v[4:5]
	v_add_f64_e32 v[4:5], v[148:149], v[26:27]
	v_add_f64_e32 v[6:7], v[150:151], v[120:121]
	s_wait_alu 0xfffe
	v_fma_f64 v[26:27], v[118:119], s[0:1], v[132:133]
	v_fma_f64 v[116:117], v[162:163], s[0:1], v[134:135]
	;; [unrolled: 1-line block ×3, first 2 shown]
	v_mul_f64_e32 v[156:157], v[30:31], v[138:139]
	v_mul_f64_e32 v[34:35], v[30:31], v[136:137]
	v_mul_f64_e32 v[30:31], v[253:254], v[140:141]
	s_delay_alu instid0(VALU_DEP_3) | instskip(NEXT) | instid1(VALU_DEP_3)
	v_fma_f64 v[126:127], v[28:29], v[136:137], v[156:157]
	v_fma_f64 v[32:33], v[28:29], v[138:139], -v[34:35]
	s_delay_alu instid0(VALU_DEP_3)
	v_fma_f64 v[28:29], v[251:252], v[142:143], -v[30:31]
	v_add_f64_e32 v[30:31], v[144:145], v[22:23]
	v_add_f64_e32 v[142:143], v[0:1], v[144:145]
	v_add_f64_e64 v[144:145], v[144:145], -v[22:23]
	v_add_f64_e32 v[136:137], v[16:17], v[124:125]
	v_fma_f64 v[34:35], v[251:252], v[140:141], v[158:159]
	v_add_f64_e32 v[156:157], v[12:13], v[126:127]
	v_add_f64_e32 v[158:159], v[14:15], v[32:33]
	;; [unrolled: 1-line block ×3, first 2 shown]
	v_fma_f64 v[30:31], v[30:31], -0.5, v[0:1]
	v_add_f64_e32 v[0:1], v[142:143], v[22:23]
	v_fma_f64 v[18:19], v[144:145], s[0:1], v[128:129]
	v_fma_f64 v[22:23], v[144:145], s[2:3], v[128:129]
	v_add_f64_e64 v[165:166], v[32:33], -v[28:29]
	v_add_f64_e32 v[138:139], v[126:127], v[34:35]
	v_fma_f64 v[136:137], v[136:137], -0.5, v[10:11]
	v_add_f64_e64 v[126:127], v[126:127], -v[34:35]
	v_add_f64_e32 v[10:11], v[154:155], v[124:125]
	v_fma_f64 v[32:33], v[162:163], s[2:3], v[134:135]
	v_fma_f64 v[140:141], v[140:141], -0.5, v[14:15]
	v_fma_f64 v[16:17], v[146:147], s[2:3], v[30:31]
	v_fma_f64 v[20:21], v[146:147], s[0:1], v[30:31]
	v_add_f64_e32 v[14:15], v[158:159], v[28:29]
	v_fma_f64 v[28:29], v[160:161], s[0:1], v[130:131]
	v_fma_f64 v[30:31], v[118:119], s[2:3], v[132:133]
	v_fma_f64 v[138:139], v[138:139], -0.5, v[12:13]
	v_add_f64_e32 v[12:13], v[156:157], v[34:35]
	v_fma_f64 v[34:35], v[122:123], s[0:1], v[136:137]
	v_fma_f64 v[118:119], v[122:123], s[2:3], v[136:137]
	ds_store_b128 v179, v[0:3]
	ds_store_b128 v179, v[16:19] offset:208
	ds_store_b128 v179, v[20:23] offset:416
	scratch_load_b32 v0, off, off offset:20 th:TH_LOAD_LU ; 4-byte Folded Reload
	v_fma_f64 v[122:123], v[126:127], s[0:1], v[140:141]
	v_fma_f64 v[126:127], v[126:127], s[2:3], v[140:141]
	s_wait_loadcnt 0x0
	ds_store_b128 v0, v[4:7]
	ds_store_b128 v0, v[24:27] offset:208
	ds_store_b128 v0, v[28:31] offset:416
	scratch_load_b32 v0, off, off offset:16 th:TH_LOAD_LU ; 4-byte Folded Reload
	v_fma_f64 v[120:121], v[165:166], s[2:3], v[138:139]
	v_fma_f64 v[124:125], v[165:166], s[0:1], v[138:139]
	s_wait_loadcnt 0x0
	ds_store_b128 v0, v[8:11]
	ds_store_b128 v0, v[32:35] offset:208
	ds_store_b128 v0, v[116:119] offset:416
	ds_store_b128 v178, v[12:15]
	ds_store_b128 v178, v[120:123] offset:208
	ds_store_b128 v178, v[124:127] offset:416
	global_wb scope:SCOPE_SE
	s_wait_dscnt 0x0
	s_barrier_signal -1
	s_barrier_wait -1
	global_inv scope:SCOPE_SE
	ds_load_b128 v[0:3], v171 offset:7488
	ds_load_b128 v[4:7], v171 offset:14976
	;; [unrolled: 1-line block ×10, first 2 shown]
	s_wait_dscnt 0x9
	v_mul_f64_e32 v[120:121], v[70:71], v[2:3]
	v_mul_f64_e32 v[70:71], v[70:71], v[0:1]
	s_wait_dscnt 0x8
	v_mul_f64_e32 v[122:123], v[66:67], v[6:7]
	v_mul_f64_e32 v[66:67], v[66:67], v[4:5]
	;; [unrolled: 3-line block ×9, first 2 shown]
	v_fma_f64 v[120:121], v[68:69], v[0:1], v[120:121]
	v_fma_f64 v[68:69], v[68:69], v[2:3], -v[70:71]
	v_fma_f64 v[70:71], v[64:65], v[4:5], v[122:123]
	v_fma_f64 v[64:65], v[64:65], v[6:7], -v[66:67]
	;; [unrolled: 2-line block ×9, first 2 shown]
	ds_load_b128 v[0:3], v171
	ds_load_b128 v[4:7], v171 offset:2496
	global_wb scope:SCOPE_SE
	s_wait_dscnt 0x0
	s_barrier_signal -1
	s_barrier_wait -1
	global_inv scope:SCOPE_SE
	v_add_f64_e64 v[48:49], v[0:1], -v[70:71]
	v_add_f64_e64 v[50:51], v[2:3], -v[64:65]
	;; [unrolled: 1-line block ×12, first 2 shown]
	v_fma_f64 v[30:31], v[0:1], 2.0, -v[48:49]
	v_fma_f64 v[34:35], v[2:3], 2.0, -v[50:51]
	;; [unrolled: 1-line block ×4, first 2 shown]
	v_add_f64_e32 v[0:1], v[48:49], v[10:11]
	v_add_f64_e64 v[2:3], v[50:51], -v[8:9]
	v_fma_f64 v[58:59], v[4:5], 2.0, -v[52:53]
	v_fma_f64 v[62:63], v[6:7], 2.0, -v[54:55]
	;; [unrolled: 1-line block ×4, first 2 shown]
	v_add_f64_e32 v[4:5], v[52:53], v[18:19]
	v_fma_f64 v[64:65], v[116:117], 2.0, -v[56:57]
	v_fma_f64 v[66:67], v[118:119], 2.0, -v[60:61]
	;; [unrolled: 1-line block ×4, first 2 shown]
	v_add_f64_e64 v[18:19], v[60:61], -v[28:29]
	v_add_f64_e64 v[8:9], v[30:31], -v[22:23]
	;; [unrolled: 1-line block ×6, first 2 shown]
	v_add_f64_e32 v[16:17], v[56:57], v[20:21]
	v_fma_f64 v[28:29], v[52:53], 2.0, -v[4:5]
	v_add_f64_e64 v[20:21], v[64:65], -v[24:25]
	v_add_f64_e64 v[22:23], v[66:67], -v[26:27]
	v_fma_f64 v[24:25], v[48:49], 2.0, -v[0:1]
	v_fma_f64 v[26:27], v[50:51], 2.0, -v[2:3]
	;; [unrolled: 1-line block ×11, first 2 shown]
	ds_store_b128 v180, v[8:11] offset:1248
	ds_store_b128 v180, v[0:3] offset:1872
	ds_store_b128 v180, v[32:35]
	ds_store_b128 v180, v[24:27] offset:624
	ds_store_b128 v164, v[48:51]
	ds_store_b128 v164, v[28:31] offset:624
	ds_store_b128 v164, v[12:15] offset:1248
	;; [unrolled: 1-line block ×3, first 2 shown]
	ds_store_b128 v172, v[56:59]
	ds_store_b128 v172, v[52:55] offset:624
	ds_store_b128 v172, v[20:23] offset:1248
	;; [unrolled: 1-line block ×3, first 2 shown]
	global_wb scope:SCOPE_SE
	s_wait_dscnt 0x0
	s_barrier_signal -1
	s_barrier_wait -1
	global_inv scope:SCOPE_SE
	ds_load_b128 v[0:3], v171 offset:14976
	ds_load_b128 v[4:7], v171 offset:24960
	;; [unrolled: 1-line block ×6, first 2 shown]
	s_wait_dscnt 0x5
	v_mul_f64_e32 v[24:25], v[86:87], v[0:1]
	s_wait_dscnt 0x4
	v_mul_f64_e32 v[26:27], v[90:91], v[4:5]
	;; [unrolled: 2-line block ×5, first 2 shown]
	v_mul_f64_e32 v[54:55], v[86:87], v[2:3]
	v_mul_f64_e32 v[56:57], v[90:91], v[6:7]
	;; [unrolled: 1-line block ×4, first 2 shown]
	v_fma_f64 v[58:59], v[84:85], v[2:3], -v[24:25]
	v_fma_f64 v[60:61], v[88:89], v[6:7], -v[26:27]
	s_wait_dscnt 0x0
	v_mul_f64_e32 v[2:3], v[38:39], v[20:21]
	v_mul_f64_e32 v[6:7], v[86:87], v[10:11]
	v_fma_f64 v[10:11], v[84:85], v[10:11], -v[28:29]
	v_fma_f64 v[14:15], v[88:89], v[14:15], -v[30:31]
	ds_load_b128 v[24:27], v171 offset:9984
	ds_load_b128 v[28:31], v171 offset:19968
	;; [unrolled: 1-line block ×4, first 2 shown]
	v_fma_f64 v[54:55], v[84:85], v[0:1], v[54:55]
	v_fma_f64 v[56:57], v[88:89], v[4:5], v[56:57]
	v_fma_f64 v[18:19], v[36:37], v[18:19], -v[52:53]
	v_mul_f64_e32 v[38:39], v[38:39], v[22:23]
	v_fma_f64 v[12:13], v[88:89], v[12:13], v[62:63]
	v_fma_f64 v[16:17], v[36:37], v[16:17], v[64:65]
	s_wait_dscnt 0x3
	v_mul_f64_e32 v[66:67], v[46:47], v[26:27]
	v_mul_f64_e32 v[68:69], v[46:47], v[24:25]
	s_wait_dscnt 0x2
	v_mul_f64_e32 v[70:71], v[42:43], v[30:31]
	v_mul_f64_e32 v[72:73], v[42:43], v[28:29]
	;; [unrolled: 3-line block ×4, first 2 shown]
	v_add_f64_e32 v[0:1], v[58:59], v[60:61]
	v_fma_f64 v[22:23], v[36:37], v[22:23], -v[2:3]
	v_fma_f64 v[8:9], v[84:85], v[8:9], v[6:7]
	v_add_f64_e32 v[2:3], v[10:11], v[14:15]
	v_add_f64_e32 v[6:7], v[54:55], v[56:57]
	v_add_f64_e64 v[62:63], v[54:55], -v[56:57]
	v_fma_f64 v[20:21], v[36:37], v[20:21], v[38:39]
	v_fma_f64 v[24:25], v[44:45], v[24:25], v[66:67]
	v_fma_f64 v[26:27], v[44:45], v[26:27], -v[68:69]
	v_fma_f64 v[28:29], v[40:41], v[28:29], v[70:71]
	v_fma_f64 v[30:31], v[40:41], v[30:31], -v[72:73]
	;; [unrolled: 2-line block ×4, first 2 shown]
	v_add_f64_e64 v[48:49], v[58:59], -v[60:61]
	v_add_f64_e64 v[68:69], v[10:11], -v[14:15]
	v_fma_f64 v[0:1], v[0:1], -0.5, v[18:19]
	v_add_f64_e32 v[18:19], v[18:19], v[58:59]
	v_add_f64_e32 v[4:5], v[8:9], v[12:13]
	v_add_f64_e64 v[36:37], v[8:9], -v[12:13]
	v_fma_f64 v[38:39], v[2:3], -0.5, v[22:23]
	v_add_f64_e32 v[10:11], v[22:23], v[10:11]
	v_fma_f64 v[50:51], v[6:7], -0.5, v[16:17]
	v_add_f64_e32 v[16:17], v[16:17], v[54:55]
	v_add_f64_e32 v[8:9], v[20:21], v[8:9]
	;; [unrolled: 1-line block ×4, first 2 shown]
	v_add_f64_e64 v[74:75], v[26:27], -v[30:31]
	v_add_f64_e32 v[64:65], v[32:33], v[44:45]
	v_add_f64_e32 v[66:67], v[34:35], v[40:41]
	v_add_f64_e64 v[58:59], v[34:35], -v[40:41]
	v_fma_f64 v[52:53], v[62:63], s[0:1], v[0:1]
	v_fma_f64 v[62:63], v[62:63], s[2:3], v[0:1]
	v_fma_f64 v[70:71], v[4:5], -0.5, v[20:21]
	ds_load_b128 v[0:3], v171
	ds_load_b128 v[4:7], v171 offset:2496
	v_fma_f64 v[72:73], v[36:37], s[0:1], v[38:39]
	v_fma_f64 v[36:37], v[36:37], s[2:3], v[38:39]
	;; [unrolled: 1-line block ×4, first 2 shown]
	v_add_f64_e32 v[16:17], v[16:17], v[56:57]
	v_add_f64_e32 v[18:19], v[18:19], v[60:61]
	;; [unrolled: 1-line block ×4, first 2 shown]
	global_wb scope:SCOPE_SE
	s_wait_dscnt 0x0
	s_barrier_signal -1
	s_barrier_wait -1
	global_inv scope:SCOPE_SE
	v_add_f64_e32 v[38:39], v[0:1], v[24:25]
	v_add_f64_e32 v[26:27], v[2:3], v[26:27]
	v_add_f64_e64 v[24:25], v[24:25], -v[28:29]
	v_add_f64_e32 v[54:55], v[4:5], v[32:33]
	v_fma_f64 v[0:1], v[42:43], -0.5, v[0:1]
	v_fma_f64 v[2:3], v[46:47], -0.5, v[2:3]
	v_add_f64_e32 v[34:35], v[6:7], v[34:35]
	v_add_f64_e64 v[32:33], v[32:33], -v[44:45]
	v_fma_f64 v[4:5], v[64:65], -0.5, v[4:5]
	v_fma_f64 v[6:7], v[66:67], -0.5, v[6:7]
	v_mul_f64_e32 v[42:43], s[2:3], v[52:53]
	v_mul_f64_e32 v[46:47], s[2:3], v[62:63]
	v_mul_f64_e32 v[48:49], 0.5, v[52:53]
	v_mul_f64_e32 v[50:51], -0.5, v[62:63]
	v_fma_f64 v[52:53], v[68:69], s[2:3], v[70:71]
	v_fma_f64 v[62:63], v[68:69], s[0:1], v[70:71]
	v_mul_f64_e32 v[64:65], s[2:3], v[72:73]
	v_mul_f64_e32 v[68:69], 0.5, v[72:73]
	v_mul_f64_e32 v[66:67], s[2:3], v[36:37]
	v_mul_f64_e32 v[36:37], -0.5, v[36:37]
	v_add_f64_e32 v[28:29], v[38:39], v[28:29]
	v_add_f64_e32 v[26:27], v[26:27], v[30:31]
	;; [unrolled: 1-line block ×3, first 2 shown]
	v_fma_f64 v[38:39], v[74:75], s[2:3], v[0:1]
	v_fma_f64 v[44:45], v[24:25], s[0:1], v[2:3]
	;; [unrolled: 1-line block ×3, first 2 shown]
	v_add_f64_e32 v[34:35], v[34:35], v[40:41]
	v_fma_f64 v[40:41], v[74:75], s[0:1], v[0:1]
	v_fma_f64 v[56:57], v[58:59], s[0:1], v[4:5]
	;; [unrolled: 1-line block ×3, first 2 shown]
	v_fma_f64 v[24:25], v[20:21], 0.5, v[42:43]
	v_fma_f64 v[42:43], v[22:23], -0.5, v[46:47]
	v_fma_f64 v[46:47], v[20:21], s[0:1], v[48:49]
	v_fma_f64 v[48:49], v[22:23], s[0:1], v[50:51]
	;; [unrolled: 1-line block ×4, first 2 shown]
	v_fma_f64 v[64:65], v[52:53], 0.5, v[64:65]
	v_fma_f64 v[52:53], v[52:53], s[0:1], v[68:69]
	v_fma_f64 v[66:67], v[62:63], -0.5, v[66:67]
	v_fma_f64 v[62:63], v[62:63], s[0:1], v[36:37]
	v_add_f64_e32 v[0:1], v[28:29], v[16:17]
	v_add_f64_e32 v[2:3], v[26:27], v[18:19]
	v_add_f64_e64 v[4:5], v[28:29], -v[16:17]
	v_add_f64_e64 v[6:7], v[26:27], -v[18:19]
	v_add_f64_e32 v[8:9], v[30:31], v[12:13]
	v_add_f64_e64 v[12:13], v[30:31], -v[12:13]
	v_add_f64_e32 v[10:11], v[34:35], v[14:15]
	;; [unrolled: 2-line block ×3, first 2 shown]
	v_add_f64_e32 v[20:21], v[40:41], v[42:43]
	v_add_f64_e32 v[18:19], v[44:45], v[46:47]
	;; [unrolled: 1-line block ×3, first 2 shown]
	v_add_f64_e64 v[24:25], v[38:39], -v[24:25]
	v_add_f64_e64 v[26:27], v[44:45], -v[46:47]
	;; [unrolled: 1-line block ×4, first 2 shown]
	v_add_f64_e32 v[32:33], v[50:51], v[64:65]
	v_add_f64_e32 v[34:35], v[58:59], v[52:53]
	;; [unrolled: 1-line block ×4, first 2 shown]
	v_add_f64_e64 v[40:41], v[50:51], -v[64:65]
	v_add_f64_e64 v[42:43], v[58:59], -v[52:53]
	;; [unrolled: 1-line block ×4, first 2 shown]
	ds_store_b128 v171, v[0:3]
	ds_store_b128 v171, v[16:19] offset:2496
	ds_store_b128 v171, v[20:23] offset:4992
	;; [unrolled: 1-line block ×11, first 2 shown]
	global_wb scope:SCOPE_SE
	s_wait_dscnt 0x0
	s_barrier_signal -1
	s_barrier_wait -1
	global_inv scope:SCOPE_SE
	ds_load_b128 v[0:3], v171 offset:14976
	ds_load_b128 v[4:7], v171 offset:17472
	;; [unrolled: 1-line block ×6, first 2 shown]
	s_wait_dscnt 0x5
	v_mul_f64_e32 v[24:25], v[94:95], v[2:3]
	v_mul_f64_e32 v[26:27], v[94:95], v[0:1]
	s_wait_dscnt 0x4
	v_mul_f64_e32 v[28:29], v[98:99], v[6:7]
	v_mul_f64_e32 v[30:31], v[98:99], v[4:5]
	s_wait_dscnt 0x3
	v_mul_f64_e32 v[32:33], v[102:103], v[10:11]
	v_mul_f64_e32 v[34:35], v[102:103], v[8:9]
	s_wait_dscnt 0x2
	v_mul_f64_e32 v[36:37], v[106:107], v[14:15]
	v_mul_f64_e32 v[38:39], v[106:107], v[12:13]
	s_wait_dscnt 0x1
	v_mul_f64_e32 v[40:41], v[110:111], v[18:19]
	v_mul_f64_e32 v[42:43], v[110:111], v[16:17]
	s_wait_dscnt 0x0
	v_mul_f64_e32 v[44:45], v[114:115], v[22:23]
	v_mul_f64_e32 v[46:47], v[114:115], v[20:21]
	v_fma_f64 v[24:25], v[92:93], v[0:1], v[24:25]
	v_fma_f64 v[26:27], v[92:93], v[2:3], -v[26:27]
	v_fma_f64 v[28:29], v[96:97], v[4:5], v[28:29]
	v_fma_f64 v[30:31], v[96:97], v[6:7], -v[30:31]
	;; [unrolled: 2-line block ×6, first 2 shown]
	ds_load_b128 v[0:3], v171
	ds_load_b128 v[4:7], v171 offset:2496
	ds_load_b128 v[8:11], v171 offset:4992
	;; [unrolled: 1-line block ×5, first 2 shown]
	s_wait_dscnt 0x5
	v_add_f64_e64 v[24:25], v[0:1], -v[24:25]
	v_add_f64_e64 v[26:27], v[2:3], -v[26:27]
	s_wait_dscnt 0x4
	v_add_f64_e64 v[28:29], v[4:5], -v[28:29]
	v_add_f64_e64 v[30:31], v[6:7], -v[30:31]
	;; [unrolled: 3-line block ×6, first 2 shown]
	v_fma_f64 v[0:1], v[0:1], 2.0, -v[24:25]
	v_fma_f64 v[2:3], v[2:3], 2.0, -v[26:27]
	;; [unrolled: 1-line block ×12, first 2 shown]
	ds_store_b128 v171, v[24:27] offset:14976
	ds_store_b128 v171, v[28:31] offset:17472
	;; [unrolled: 1-line block ×6, first 2 shown]
	ds_store_b128 v171, v[0:3]
	ds_store_b128 v171, v[4:7] offset:2496
	ds_store_b128 v171, v[8:11] offset:4992
	;; [unrolled: 1-line block ×5, first 2 shown]
	global_wb scope:SCOPE_SE
	s_wait_dscnt 0x0
	s_barrier_signal -1
	s_barrier_wait -1
	global_inv scope:SCOPE_SE
	s_and_b32 exec_lo, exec_lo, vcc_lo
	s_cbranch_execz .LBB0_15
; %bb.14:
	s_clause 0xb
	global_load_b128 v[0:3], v255, s[8:9]
	global_load_b128 v[4:7], v255, s[8:9] offset:2304
	global_load_b128 v[8:11], v255, s[8:9] offset:4608
	;; [unrolled: 1-line block ×11, first 2 shown]
	v_mad_co_u64_u32 v[80:81], null, s6, v169, 0
	v_mad_co_u64_u32 v[96:97], null, s4, v170, 0
	s_mul_u64 s[0:1], s[4:5], 0x900
	s_mov_b32 s2, 0x11811812
	s_mov_b32 s3, 0x3f418118
	s_delay_alu instid0(VALU_DEP_2) | instskip(NEXT) | instid1(VALU_DEP_2)
	v_mov_b32_e32 v48, v81
	v_mov_b32_e32 v56, v97
	s_delay_alu instid0(VALU_DEP_2)
	v_mad_co_u64_u32 v[64:65], null, s7, v169, v[48:49]
	ds_load_b128 v[48:51], v171
	ds_load_b128 v[52:55], v173 offset:2304
	v_mad_co_u64_u32 v[82:83], null, s5, v170, v[56:57]
	ds_load_b128 v[56:59], v173 offset:4608
	ds_load_b128 v[60:63], v173 offset:6912
	v_mov_b32_e32 v81, v64
	ds_load_b128 v[64:67], v173 offset:9216
	ds_load_b128 v[68:71], v173 offset:11520
	;; [unrolled: 1-line block ×4, first 2 shown]
	v_mov_b32_e32 v97, v82
	v_lshlrev_b64_e32 v[98:99], 4, v[80:81]
	ds_load_b128 v[80:83], v173 offset:18432
	ds_load_b128 v[84:87], v173 offset:20736
	;; [unrolled: 1-line block ×4, first 2 shown]
	v_lshlrev_b64_e32 v[96:97], 4, v[96:97]
	v_add_co_u32 v122, vcc_lo, s12, v98
	v_add_co_ci_u32_e32 v123, vcc_lo, s13, v99, vcc_lo
	s_delay_alu instid0(VALU_DEP_2) | instskip(SKIP_1) | instid1(VALU_DEP_2)
	v_add_co_u32 v96, vcc_lo, v122, v96
	s_wait_alu 0xfffd
	v_add_co_ci_u32_e32 v97, vcc_lo, v123, v97, vcc_lo
	s_wait_alu 0xfffe
	s_delay_alu instid0(VALU_DEP_2) | instskip(SKIP_1) | instid1(VALU_DEP_2)
	v_add_co_u32 v122, vcc_lo, v96, s0
	s_wait_alu 0xfffd
	v_add_co_ci_u32_e32 v123, vcc_lo, s1, v97, vcc_lo
	s_delay_alu instid0(VALU_DEP_2) | instskip(SKIP_1) | instid1(VALU_DEP_2)
	v_add_co_u32 v124, vcc_lo, v122, s0
	s_wait_alu 0xfffd
	v_add_co_ci_u32_e32 v125, vcc_lo, s1, v123, vcc_lo
	s_wait_loadcnt_dscnt 0xb0b
	v_mul_f64_e32 v[98:99], v[50:51], v[2:3]
	v_mul_f64_e32 v[2:3], v[48:49], v[2:3]
	s_wait_loadcnt_dscnt 0xa0a
	v_mul_f64_e32 v[100:101], v[54:55], v[6:7]
	v_mul_f64_e32 v[6:7], v[52:53], v[6:7]
	;; [unrolled: 3-line block ×12, first 2 shown]
	v_fma_f64 v[48:49], v[48:49], v[0:1], v[98:99]
	v_fma_f64 v[2:3], v[0:1], v[50:51], -v[2:3]
	v_fma_f64 v[50:51], v[52:53], v[4:5], v[100:101]
	v_fma_f64 v[6:7], v[4:5], v[54:55], -v[6:7]
	v_fma_f64 v[52:53], v[56:57], v[8:9], v[102:103]
	v_fma_f64 v[10:11], v[8:9], v[58:59], -v[10:11]
	v_fma_f64 v[54:55], v[60:61], v[12:13], v[104:105]
	v_fma_f64 v[14:15], v[12:13], v[62:63], -v[14:15]
	v_fma_f64 v[56:57], v[64:65], v[16:17], v[106:107]
	v_fma_f64 v[18:19], v[16:17], v[66:67], -v[18:19]
	v_fma_f64 v[58:59], v[68:69], v[20:21], v[108:109]
	v_fma_f64 v[22:23], v[20:21], v[70:71], -v[22:23]
	v_fma_f64 v[60:61], v[72:73], v[24:25], v[110:111]
	v_fma_f64 v[26:27], v[24:25], v[74:75], -v[26:27]
	v_fma_f64 v[62:63], v[76:77], v[28:29], v[112:113]
	v_fma_f64 v[30:31], v[28:29], v[78:79], -v[30:31]
	v_fma_f64 v[64:65], v[80:81], v[32:33], v[114:115]
	v_fma_f64 v[34:35], v[32:33], v[82:83], -v[34:35]
	v_fma_f64 v[66:67], v[84:85], v[36:37], v[116:117]
	v_fma_f64 v[38:39], v[36:37], v[86:87], -v[38:39]
	v_fma_f64 v[68:69], v[88:89], v[40:41], v[118:119]
	v_fma_f64 v[42:43], v[40:41], v[90:91], -v[42:43]
	v_fma_f64 v[70:71], v[92:93], v[44:45], v[120:121]
	v_fma_f64 v[46:47], v[44:45], v[94:95], -v[46:47]
	v_add_co_u32 v72, vcc_lo, v124, s0
	s_wait_alu 0xfffd
	v_add_co_ci_u32_e32 v73, vcc_lo, s1, v125, vcc_lo
	s_delay_alu instid0(VALU_DEP_2) | instskip(SKIP_1) | instid1(VALU_DEP_2)
	v_add_co_u32 v74, vcc_lo, v72, s0
	s_wait_alu 0xfffd
	v_add_co_ci_u32_e32 v75, vcc_lo, s1, v73, vcc_lo
	s_delay_alu instid0(VALU_DEP_2) | instskip(SKIP_1) | instid1(VALU_DEP_2)
	v_add_co_u32 v76, vcc_lo, v74, s0
	s_wait_alu 0xfffd
	v_add_co_ci_u32_e32 v77, vcc_lo, s1, v75, vcc_lo
	v_mul_f64_e32 v[0:1], s[2:3], v[48:49]
	v_mul_f64_e32 v[2:3], s[2:3], v[2:3]
	;; [unrolled: 1-line block ×24, first 2 shown]
	v_add_co_u32 v48, vcc_lo, v76, s0
	s_wait_alu 0xfffd
	v_add_co_ci_u32_e32 v49, vcc_lo, s1, v77, vcc_lo
	s_delay_alu instid0(VALU_DEP_2) | instskip(SKIP_1) | instid1(VALU_DEP_2)
	v_add_co_u32 v50, vcc_lo, v48, s0
	s_wait_alu 0xfffd
	v_add_co_ci_u32_e32 v51, vcc_lo, s1, v49, vcc_lo
	s_delay_alu instid0(VALU_DEP_2) | instskip(SKIP_1) | instid1(VALU_DEP_2)
	;; [unrolled: 4-line block ×5, first 2 shown]
	v_add_co_u32 v58, vcc_lo, v56, s0
	s_wait_alu 0xfffd
	v_add_co_ci_u32_e32 v59, vcc_lo, s1, v57, vcc_lo
	s_clause 0x4
	global_store_b128 v[96:97], v[0:3], off
	global_store_b128 v[122:123], v[4:7], off
	;; [unrolled: 1-line block ×12, first 2 shown]
	global_load_b128 v[0:3], v255, s[8:9] offset:27648
	ds_load_b128 v[4:7], v173 offset:27648
	s_wait_loadcnt_dscnt 0x0
	v_mul_f64_e32 v[8:9], v[6:7], v[2:3]
	v_mul_f64_e32 v[2:3], v[4:5], v[2:3]
	s_delay_alu instid0(VALU_DEP_2) | instskip(NEXT) | instid1(VALU_DEP_2)
	v_fma_f64 v[4:5], v[4:5], v[0:1], v[8:9]
	v_fma_f64 v[2:3], v[0:1], v[6:7], -v[2:3]
	s_delay_alu instid0(VALU_DEP_2) | instskip(NEXT) | instid1(VALU_DEP_2)
	v_mul_f64_e32 v[0:1], s[2:3], v[4:5]
	v_mul_f64_e32 v[2:3], s[2:3], v[2:3]
	v_add_co_u32 v4, vcc_lo, v58, s0
	s_wait_alu 0xfffd
	v_add_co_ci_u32_e32 v5, vcc_lo, s1, v59, vcc_lo
	global_store_b128 v[4:5], v[0:3], off
.LBB0_15:
	s_nop 0
	s_sendmsg sendmsg(MSG_DEALLOC_VGPRS)
	s_endpgm
	.section	.rodata,"a",@progbits
	.p2align	6, 0x0
	.amdhsa_kernel bluestein_single_fwd_len1872_dim1_dp_op_CI_CI
		.amdhsa_group_segment_fixed_size 29952
		.amdhsa_private_segment_fixed_size 96
		.amdhsa_kernarg_size 104
		.amdhsa_user_sgpr_count 2
		.amdhsa_user_sgpr_dispatch_ptr 0
		.amdhsa_user_sgpr_queue_ptr 0
		.amdhsa_user_sgpr_kernarg_segment_ptr 1
		.amdhsa_user_sgpr_dispatch_id 0
		.amdhsa_user_sgpr_private_segment_size 0
		.amdhsa_wavefront_size32 1
		.amdhsa_uses_dynamic_stack 0
		.amdhsa_enable_private_segment 1
		.amdhsa_system_sgpr_workgroup_id_x 1
		.amdhsa_system_sgpr_workgroup_id_y 0
		.amdhsa_system_sgpr_workgroup_id_z 0
		.amdhsa_system_sgpr_workgroup_info 0
		.amdhsa_system_vgpr_workitem_id 0
		.amdhsa_next_free_vgpr 256
		.amdhsa_next_free_sgpr 46
		.amdhsa_reserve_vcc 1
		.amdhsa_float_round_mode_32 0
		.amdhsa_float_round_mode_16_64 0
		.amdhsa_float_denorm_mode_32 3
		.amdhsa_float_denorm_mode_16_64 3
		.amdhsa_fp16_overflow 0
		.amdhsa_workgroup_processor_mode 1
		.amdhsa_memory_ordered 1
		.amdhsa_forward_progress 0
		.amdhsa_round_robin_scheduling 0
		.amdhsa_exception_fp_ieee_invalid_op 0
		.amdhsa_exception_fp_denorm_src 0
		.amdhsa_exception_fp_ieee_div_zero 0
		.amdhsa_exception_fp_ieee_overflow 0
		.amdhsa_exception_fp_ieee_underflow 0
		.amdhsa_exception_fp_ieee_inexact 0
		.amdhsa_exception_int_div_zero 0
	.end_amdhsa_kernel
	.text
.Lfunc_end0:
	.size	bluestein_single_fwd_len1872_dim1_dp_op_CI_CI, .Lfunc_end0-bluestein_single_fwd_len1872_dim1_dp_op_CI_CI
                                        ; -- End function
	.section	.AMDGPU.csdata,"",@progbits
; Kernel info:
; codeLenInByte = 18264
; NumSgprs: 48
; NumVgprs: 256
; ScratchSize: 96
; MemoryBound: 0
; FloatMode: 240
; IeeeMode: 1
; LDSByteSize: 29952 bytes/workgroup (compile time only)
; SGPRBlocks: 5
; VGPRBlocks: 31
; NumSGPRsForWavesPerEU: 48
; NumVGPRsForWavesPerEU: 256
; Occupancy: 5
; WaveLimiterHint : 1
; COMPUTE_PGM_RSRC2:SCRATCH_EN: 1
; COMPUTE_PGM_RSRC2:USER_SGPR: 2
; COMPUTE_PGM_RSRC2:TRAP_HANDLER: 0
; COMPUTE_PGM_RSRC2:TGID_X_EN: 1
; COMPUTE_PGM_RSRC2:TGID_Y_EN: 0
; COMPUTE_PGM_RSRC2:TGID_Z_EN: 0
; COMPUTE_PGM_RSRC2:TIDIG_COMP_CNT: 0
	.text
	.p2alignl 7, 3214868480
	.fill 96, 4, 3214868480
	.type	__hip_cuid_cc33008de43f2c0b,@object ; @__hip_cuid_cc33008de43f2c0b
	.section	.bss,"aw",@nobits
	.globl	__hip_cuid_cc33008de43f2c0b
__hip_cuid_cc33008de43f2c0b:
	.byte	0                               ; 0x0
	.size	__hip_cuid_cc33008de43f2c0b, 1

	.ident	"AMD clang version 19.0.0git (https://github.com/RadeonOpenCompute/llvm-project roc-6.4.0 25133 c7fe45cf4b819c5991fe208aaa96edf142730f1d)"
	.section	".note.GNU-stack","",@progbits
	.addrsig
	.addrsig_sym __hip_cuid_cc33008de43f2c0b
	.amdgpu_metadata
---
amdhsa.kernels:
  - .args:
      - .actual_access:  read_only
        .address_space:  global
        .offset:         0
        .size:           8
        .value_kind:     global_buffer
      - .actual_access:  read_only
        .address_space:  global
        .offset:         8
        .size:           8
        .value_kind:     global_buffer
      - .actual_access:  read_only
        .address_space:  global
        .offset:         16
        .size:           8
        .value_kind:     global_buffer
      - .actual_access:  read_only
        .address_space:  global
        .offset:         24
        .size:           8
        .value_kind:     global_buffer
      - .actual_access:  read_only
        .address_space:  global
        .offset:         32
        .size:           8
        .value_kind:     global_buffer
      - .offset:         40
        .size:           8
        .value_kind:     by_value
      - .address_space:  global
        .offset:         48
        .size:           8
        .value_kind:     global_buffer
      - .address_space:  global
        .offset:         56
        .size:           8
        .value_kind:     global_buffer
      - .address_space:  global
        .offset:         64
        .size:           8
        .value_kind:     global_buffer
      - .address_space:  global
        .offset:         72
        .size:           8
        .value_kind:     global_buffer
      - .offset:         80
        .size:           4
        .value_kind:     by_value
      - .address_space:  global
        .offset:         88
        .size:           8
        .value_kind:     global_buffer
      - .address_space:  global
        .offset:         96
        .size:           8
        .value_kind:     global_buffer
    .group_segment_fixed_size: 29952
    .kernarg_segment_align: 8
    .kernarg_segment_size: 104
    .language:       OpenCL C
    .language_version:
      - 2
      - 0
    .max_flat_workgroup_size: 156
    .name:           bluestein_single_fwd_len1872_dim1_dp_op_CI_CI
    .private_segment_fixed_size: 96
    .sgpr_count:     48
    .sgpr_spill_count: 0
    .symbol:         bluestein_single_fwd_len1872_dim1_dp_op_CI_CI.kd
    .uniform_work_group_size: 1
    .uses_dynamic_stack: false
    .vgpr_count:     256
    .vgpr_spill_count: 23
    .wavefront_size: 32
    .workgroup_processor_mode: 1
amdhsa.target:   amdgcn-amd-amdhsa--gfx1201
amdhsa.version:
  - 1
  - 2
...

	.end_amdgpu_metadata
